;; amdgpu-corpus repo=ROCm/rocFFT kind=compiled arch=gfx1201 opt=O3
	.text
	.amdgcn_target "amdgcn-amd-amdhsa--gfx1201"
	.amdhsa_code_object_version 6
	.protected	bluestein_single_back_len330_dim1_half_op_CI_CI ; -- Begin function bluestein_single_back_len330_dim1_half_op_CI_CI
	.globl	bluestein_single_back_len330_dim1_half_op_CI_CI
	.p2align	8
	.type	bluestein_single_back_len330_dim1_half_op_CI_CI,@function
bluestein_single_back_len330_dim1_half_op_CI_CI: ; @bluestein_single_back_len330_dim1_half_op_CI_CI
; %bb.0:
	s_load_b128 s[4:7], s[0:1], 0x28
	v_mul_u32_u24_e32 v1, 0x7c2, v0
	s_mov_b32 s2, exec_lo
	s_delay_alu instid0(VALU_DEP_1) | instskip(NEXT) | instid1(VALU_DEP_1)
	v_lshrrev_b32_e32 v1, 16, v1
	v_mad_co_u64_u32 v[8:9], null, ttmp9, 3, v[1:2]
	v_mov_b32_e32 v9, 0
	s_wait_kmcnt 0x0
	s_delay_alu instid0(VALU_DEP_1)
	v_cmpx_gt_u64_e64 s[4:5], v[8:9]
	s_cbranch_execz .LBB0_23
; %bb.1:
	v_mul_hi_u32 v2, 0xaaaaaaab, v8
	s_clause 0x1
	s_load_b64 s[10:11], s[0:1], 0x0
	s_load_b64 s[8:9], s[0:1], 0x38
	v_mul_lo_u16 v1, v1, 33
	s_delay_alu instid0(VALU_DEP_1) | instskip(NEXT) | instid1(VALU_DEP_3)
	v_sub_nc_u16 v0, v0, v1
	v_lshrrev_b32_e32 v2, 1, v2
	s_delay_alu instid0(VALU_DEP_2) | instskip(NEXT) | instid1(VALU_DEP_2)
	v_and_b32_e32 v31, 0xffff, v0
	v_lshl_add_u32 v2, v2, 1, v2
	v_cmp_gt_u16_e32 vcc_lo, 30, v0
	s_delay_alu instid0(VALU_DEP_3) | instskip(NEXT) | instid1(VALU_DEP_3)
	v_lshlrev_b32_e32 v32, 2, v31
	v_sub_nc_u32_e32 v1, v8, v2
	s_delay_alu instid0(VALU_DEP_1) | instskip(NEXT) | instid1(VALU_DEP_1)
	v_mul_u32_u24_e32 v33, 0x14a, v1
	v_lshlrev_b32_e32 v34, 2, v33
	s_and_saveexec_b32 s3, vcc_lo
	s_cbranch_execz .LBB0_3
; %bb.2:
	s_load_b64 s[4:5], s[0:1], 0x18
	s_wait_kmcnt 0x0
	s_load_b128 s[12:15], s[4:5], 0x0
	s_wait_kmcnt 0x0
	v_mad_co_u64_u32 v[0:1], null, s14, v8, 0
	v_mad_co_u64_u32 v[2:3], null, s12, v31, 0
	s_mul_u64 s[4:5], s[12:13], 0x78
	s_delay_alu instid0(VALU_DEP_1) | instskip(NEXT) | instid1(VALU_DEP_1)
	v_mad_co_u64_u32 v[4:5], null, s15, v8, v[1:2]
	v_mad_co_u64_u32 v[5:6], null, s13, v31, v[3:4]
	v_mov_b32_e32 v1, v4
	s_delay_alu instid0(VALU_DEP_1) | instskip(NEXT) | instid1(VALU_DEP_3)
	v_lshlrev_b64_e32 v[0:1], 2, v[0:1]
	v_mov_b32_e32 v3, v5
	s_delay_alu instid0(VALU_DEP_2) | instskip(NEXT) | instid1(VALU_DEP_2)
	v_add_co_u32 v0, s2, s6, v0
	v_lshlrev_b64_e32 v[2:3], 2, v[2:3]
	s_delay_alu instid0(VALU_DEP_4) | instskip(NEXT) | instid1(VALU_DEP_2)
	v_add_co_ci_u32_e64 v1, s2, s7, v1, s2
	v_add_co_u32 v0, s2, v0, v2
	s_wait_alu 0xf1ff
	s_delay_alu instid0(VALU_DEP_2) | instskip(SKIP_1) | instid1(VALU_DEP_2)
	v_add_co_ci_u32_e64 v1, s2, v1, v3, s2
	s_wait_alu 0xfffe
	v_add_co_u32 v2, s2, v0, s4
	s_wait_alu 0xf1ff
	s_delay_alu instid0(VALU_DEP_2)
	v_add_co_ci_u32_e64 v3, s2, s5, v1, s2
	s_clause 0x7
	global_load_b32 v4, v32, s[10:11]
	global_load_b32 v5, v32, s[10:11] offset:120
	global_load_b32 v6, v32, s[10:11] offset:240
	;; [unrolled: 1-line block ×7, first 2 shown]
	global_load_b32 v13, v[0:1], off
	s_clause 0x1
	global_load_b32 v14, v32, s[10:11] offset:960
	global_load_b32 v15, v32, s[10:11] offset:1080
	global_load_b32 v16, v[2:3], off
	v_add_co_u32 v0, s2, v2, s4
	s_wait_alu 0xf1ff
	v_add_co_ci_u32_e64 v1, s2, s5, v3, s2
	global_load_b32 v17, v32, s[10:11] offset:1200
	v_add_co_u32 v2, s2, v0, s4
	s_wait_alu 0xf1ff
	v_add_co_ci_u32_e64 v3, s2, s5, v1, s2
	global_load_b32 v18, v[0:1], off
	v_add_co_u32 v0, s2, v2, s4
	s_wait_alu 0xf1ff
	v_add_co_ci_u32_e64 v1, s2, s5, v3, s2
	s_clause 0x1
	global_load_b32 v19, v[2:3], off
	global_load_b32 v20, v[0:1], off
	v_add_co_u32 v0, s2, v0, s4
	s_wait_alu 0xf1ff
	v_add_co_ci_u32_e64 v1, s2, s5, v1, s2
	s_delay_alu instid0(VALU_DEP_2) | instskip(SKIP_1) | instid1(VALU_DEP_2)
	v_add_co_u32 v2, s2, v0, s4
	s_wait_alu 0xf1ff
	v_add_co_ci_u32_e64 v3, s2, s5, v1, s2
	global_load_b32 v21, v[0:1], off
	v_add_co_u32 v0, s2, v2, s4
	s_wait_alu 0xf1ff
	v_add_co_ci_u32_e64 v1, s2, s5, v3, s2
	global_load_b32 v22, v[2:3], off
	v_add_co_u32 v2, s2, v0, s4
	s_wait_alu 0xf1ff
	v_add_co_ci_u32_e64 v3, s2, s5, v1, s2
	global_load_b32 v23, v[0:1], off
	v_add_co_u32 v0, s2, v2, s4
	s_wait_alu 0xf1ff
	v_add_co_ci_u32_e64 v1, s2, s5, v3, s2
	global_load_b32 v24, v[2:3], off
	v_add_co_u32 v2, s2, v0, s4
	s_wait_alu 0xf1ff
	v_add_co_ci_u32_e64 v3, s2, s5, v1, s2
	global_load_b32 v0, v[0:1], off
	global_load_b32 v1, v[2:3], off
	v_lshl_add_u32 v2, v31, 2, v34
	v_add_nc_u32_e32 v3, v34, v32
	s_wait_loadcnt 0x15
	v_lshrrev_b32_e32 v25, 16, v4
	s_wait_loadcnt 0x14
	v_lshrrev_b32_e32 v26, 16, v5
	;; [unrolled: 2-line block ×9, first 2 shown]
	v_mul_f16_e32 v39, v25, v13
	s_wait_loadcnt 0xc
	v_lshrrev_b32_e32 v38, 16, v14
	s_wait_loadcnt 0xa
	v_lshrrev_b32_e32 v41, 16, v16
	v_lshrrev_b32_e32 v40, 16, v15
	v_mul_f16_e32 v25, v25, v36
	v_fma_f16 v36, v4, v36, -v39
	v_mul_f16_e32 v39, v26, v16
	s_wait_loadcnt 0x9
	v_lshrrev_b32_e32 v42, 16, v17
	v_fmac_f16_e32 v25, v4, v13
	v_mul_f16_e32 v4, v26, v41
	v_fma_f16 v39, v5, v41, -v39
	s_wait_loadcnt 0x8
	v_lshrrev_b32_e32 v13, 16, v18
	v_mul_f16_e32 v26, v27, v18
	v_pack_b32_f16 v25, v25, v36
	v_fmac_f16_e32 v4, v5, v16
	s_delay_alu instid0(VALU_DEP_4)
	v_mul_f16_e32 v5, v27, v13
	s_wait_loadcnt 0x7
	v_lshrrev_b32_e32 v16, 16, v19
	v_fma_f16 v13, v6, v13, -v26
	v_mul_f16_e32 v26, v28, v19
	ds_store_b32 v2, v25
	v_pack_b32_f16 v2, v4, v39
	v_fmac_f16_e32 v5, v6, v18
	v_mul_f16_e32 v4, v28, v16
	s_wait_loadcnt 0x6
	v_lshrrev_b32_e32 v6, 16, v20
	v_fma_f16 v16, v7, v16, -v26
	v_mul_f16_e32 v18, v29, v20
	v_pack_b32_f16 v5, v5, v13
	v_fmac_f16_e32 v4, v7, v19
	v_mul_f16_e32 v7, v29, v6
	s_wait_loadcnt 0x5
	v_lshrrev_b32_e32 v13, 16, v21
	v_mul_f16_e32 v19, v30, v21
	v_fma_f16 v6, v9, v6, -v18
	v_pack_b32_f16 v4, v4, v16
	v_fmac_f16_e32 v7, v9, v20
	v_mul_f16_e32 v9, v30, v13
	s_wait_loadcnt 0x4
	v_lshrrev_b32_e32 v16, 16, v22
	v_fma_f16 v13, v10, v13, -v19
	v_mul_f16_e32 v18, v35, v22
	v_pack_b32_f16 v6, v7, v6
	v_fmac_f16_e32 v9, v10, v21
	s_wait_loadcnt 0x3
	v_lshrrev_b32_e32 v7, 16, v23
	v_mul_f16_e32 v10, v35, v16
	v_fma_f16 v16, v11, v16, -v18
	v_mul_f16_e32 v18, v37, v23
	v_pack_b32_f16 v9, v9, v13
	v_mul_f16_e32 v13, v37, v7
	v_fmac_f16_e32 v10, v11, v22
	s_wait_loadcnt 0x2
	v_lshrrev_b32_e32 v11, 16, v24
	v_fma_f16 v7, v12, v7, -v18
	v_mul_f16_e32 v18, v38, v24
	v_fmac_f16_e32 v13, v12, v23
	s_wait_loadcnt 0x1
	v_lshrrev_b32_e32 v12, 16, v0
	s_wait_loadcnt 0x0
	v_lshrrev_b32_e32 v20, 16, v1
	v_mul_f16_e32 v19, v38, v11
	v_fma_f16 v11, v14, v11, -v18
	v_mul_f16_e32 v18, v40, v0
	v_mul_f16_e32 v21, v40, v12
	;; [unrolled: 1-line block ×4, first 2 shown]
	v_fmac_f16_e32 v19, v14, v24
	v_fma_f16 v12, v15, v12, -v18
	v_fmac_f16_e32 v21, v15, v0
	v_fma_f16 v0, v17, v20, -v22
	v_fmac_f16_e32 v23, v17, v1
	v_pack_b32_f16 v1, v10, v16
	v_pack_b32_f16 v7, v13, v7
	;; [unrolled: 1-line block ×4, first 2 shown]
	v_add_nc_u32_e32 v12, 0x400, v3
	v_pack_b32_f16 v0, v23, v0
	ds_store_2addr_b32 v3, v2, v5 offset0:30 offset1:60
	ds_store_2addr_b32 v3, v4, v6 offset0:90 offset1:120
	ds_store_2addr_b32 v3, v9, v1 offset0:150 offset1:180
	ds_store_2addr_b32 v3, v7, v10 offset0:210 offset1:240
	ds_store_2addr_b32 v12, v11, v0 offset0:14 offset1:44
.LBB0_3:
	s_or_b32 exec_lo, exec_lo, s3
	s_load_b64 s[4:5], s[0:1], 0x20
	v_mov_b32_e32 v0, 0
	global_wb scope:SCOPE_SE
	s_wait_dscnt 0x0
	s_wait_kmcnt 0x0
	s_barrier_signal -1
	s_barrier_wait -1
	global_inv scope:SCOPE_SE
                                        ; implicit-def: $vgpr9
                                        ; implicit-def: $vgpr3
                                        ; implicit-def: $vgpr5
                                        ; implicit-def: $vgpr7
                                        ; implicit-def: $vgpr12
	s_and_saveexec_b32 s2, vcc_lo
	s_cbranch_execz .LBB0_5
; %bb.4:
	v_lshl_add_u32 v9, v33, 2, v32
	s_delay_alu instid0(VALU_DEP_1)
	v_add_nc_u32_e32 v2, 0x200, v9
	ds_load_2addr_b32 v[0:1], v9 offset1:30
	ds_load_2addr_b32 v[11:12], v9 offset0:60 offset1:90
	ds_load_2addr_b32 v[6:7], v9 offset0:120 offset1:150
	;; [unrolled: 1-line block ×4, first 2 shown]
	ds_load_b32 v9, v9 offset:1200
.LBB0_5:
	s_wait_alu 0xfffe
	s_or_b32 exec_lo, exec_lo, s2
	s_wait_dscnt 0x0
	v_pk_add_f16 v13, v1, v9 neg_lo:[0,1] neg_hi:[0,1]
	v_pk_add_f16 v18, v9, v1
	v_pk_add_f16 v14, v11, v3 neg_lo:[0,1] neg_hi:[0,1]
	v_pk_add_f16 v19, v3, v11
	v_pk_add_f16 v15, v12, v2 neg_lo:[0,1] neg_hi:[0,1]
	v_lshrrev_b32_e32 v44, 16, v13
	v_lshrrev_b32_e32 v25, 16, v18
	;; [unrolled: 1-line block ×3, first 2 shown]
	v_mul_f16_e32 v40, 0xb853, v13
	v_lshrrev_b32_e32 v23, 16, v0
	v_mul_f16_e32 v35, 0xb853, v44
	v_lshrrev_b32_e32 v24, 16, v19
	v_mul_f16_e32 v37, 0xbb47, v14
	v_mul_f16_e32 v29, 0xbb47, v46
	v_fma_f16 v16, v25, 0x3abb, -v40
	v_fmamk_f16 v10, v18, 0x3abb, v35
	v_lshrrev_b32_e32 v47, 16, v15
	v_pk_add_f16 v20, v2, v12
	v_fma_f16 v17, v24, 0x36a6, -v37
	v_fmamk_f16 v21, v19, 0x36a6, v29
	v_add_f16_e32 v10, v10, v0
	v_add_f16_e32 v22, v16, v23
	v_mul_f16_e32 v38, 0xbbeb, v47
	v_pk_add_f16 v16, v6, v5 neg_lo:[0,1] neg_hi:[0,1]
	v_lshrrev_b32_e32 v26, 16, v20
	v_add_f16_e32 v10, v21, v10
	v_add_f16_e32 v28, v17, v22
	v_fmamk_f16 v17, v20, 0xb08e, v38
	v_mul_f16_e32 v41, 0xbbeb, v15
	v_lshrrev_b32_e32 v49, 16, v16
	v_pk_add_f16 v22, v5, v6
	s_load_b64 s[2:3], s[0:1], 0x8
	v_add_f16_e32 v10, v17, v10
	v_pk_add_f16 v17, v7, v4 neg_lo:[0,1] neg_hi:[0,1]
	v_fma_f16 v30, v26, 0xb08e, -v41
	v_mul_f16_e32 v42, 0xba0c, v49
	v_lshrrev_b32_e32 v27, 16, v22
	v_mul_f16_e32 v45, 0xba0c, v16
	v_lshrrev_b32_e32 v48, 16, v17
	v_pk_add_f16 v21, v4, v7
	v_add_f16_e32 v30, v30, v28
	v_fmamk_f16 v36, v22, 0xb93d, v42
	v_fma_f16 v50, v27, 0xb93d, -v45
	v_mul_f16_e32 v39, 0xb482, v48
	v_lshrrev_b32_e32 v28, 16, v21
	v_mul_f16_e32 v43, 0xb482, v17
	v_add_f16_e32 v10, v36, v10
	v_add_f16_e32 v30, v50, v30
	v_fmamk_f16 v36, v21, 0xbbad, v39
	global_wb scope:SCOPE_SE
	v_fma_f16 v50, v28, 0xbbad, -v43
	s_wait_kmcnt 0x0
	s_barrier_signal -1
	s_barrier_wait -1
	v_add_f16_e32 v10, v36, v10
	v_mul_lo_u16 v36, v31, 11
	v_add_f16_e32 v30, v50, v30
	global_inv scope:SCOPE_SE
	s_and_saveexec_b32 s0, vcc_lo
	s_cbranch_execz .LBB0_7
; %bb.6:
	v_mul_f16_e32 v50, 0xba0c, v13
	v_mul_f16_e32 v54, 0x3beb, v14
	;; [unrolled: 1-line block ×5, first 2 shown]
	v_fmamk_f16 v55, v25, 0xb93d, v50
	v_fmamk_f16 v59, v24, 0xb08e, v54
	;; [unrolled: 1-line block ×3, first 2 shown]
	v_mul_f16_e32 v62, 0xb482, v16
	v_fmamk_f16 v63, v26, 0x3abb, v58
	v_add_f16_e32 v55, v55, v23
	v_fmamk_f16 v76, v24, 0xbbad, v73
	v_add_f16_e32 v72, v72, v23
	v_mul_f16_e32 v77, 0x3b47, v15
	v_fmamk_f16 v66, v27, 0xbbad, v62
	v_add_f16_e32 v55, v59, v55
	v_mul_f16_e32 v68, 0x36a6, v28
	v_add_f16_e32 v72, v76, v72
	v_fmamk_f16 v76, v26, 0x36a6, v77
	v_mul_f16_e32 v79, 0xb853, v16
	v_add_f16_e32 v55, v63, v55
	v_mul_f16_e32 v63, 0xba0c, v44
	v_fmamk_f16 v71, v17, 0x3b47, v68
	v_add_f16_e32 v72, v76, v72
	v_fmamk_f16 v76, v27, 0x3abb, v79
	v_add_f16_e32 v55, v66, v55
	v_mul_f16_e32 v81, 0xba0c, v17
	v_mul_f16_e32 v44, 0xbb47, v44
	;; [unrolled: 1-line block ×4, first 2 shown]
	v_add_f16_e32 v72, v76, v72
	v_fmamk_f16 v76, v28, 0xb93d, v81
	v_add_f16_e32 v55, v71, v55
	v_fma_f16 v71, v18, 0x36a6, -v44
	v_mul_f16_e32 v46, 0xba0c, v46
	v_mul_f16_e32 v51, 0x3abb, v18
	;; [unrolled: 1-line block ×4, first 2 shown]
	v_add_f16_e32 v72, v76, v72
	v_add_f16_e32 v71, v71, v0
	v_fma_f16 v76, v19, 0xb93d, -v46
	v_mul_f16_e32 v47, 0x3482, v47
	v_add_f16_e32 v40, v40, v52
	v_mul_f16_e32 v53, 0x36a6, v19
	v_mul_f16_e32 v60, 0xb08e, v26
	v_fma_f16 v66, v18, 0xb93d, -v63
	v_mul_f16_e32 v78, 0xb482, v49
	v_add_f16_e32 v71, v76, v71
	v_fma_f16 v76, v20, 0xbbad, -v47
	v_mul_f16_e32 v49, 0x3beb, v49
	v_sub_f16_e32 v35, v51, v35
	v_add_f16_e32 v40, v40, v23
	v_add_f16_e32 v37, v37, v56
	v_mul_f16_e32 v57, 0xb08e, v20
	v_mul_f16_e32 v59, 0xb93d, v27
	v_add_f16_e32 v66, v66, v0
	v_fma_f16 v74, v19, 0xb08e, -v70
	v_mul_f16_e32 v80, 0x3b47, v48
	v_add_f16_e32 v51, v76, v71
	v_fma_f16 v56, v22, 0xb08e, -v49
	v_add_f16_e32 v35, v35, v0
	v_sub_f16_e32 v29, v53, v29
	v_mul_f16_e32 v48, 0x3853, v48
	v_add_f16_e32 v37, v37, v40
	v_add_f16_e32 v40, v41, v60
	v_mul_f16_e32 v61, 0xb93d, v22
	v_mul_f16_e32 v65, 0xbbad, v28
	v_add_f16_e32 v66, v74, v66
	v_fma_f16 v74, v20, 0x3abb, -v75
	v_add_f16_e32 v41, v56, v51
	v_add_f16_e32 v29, v29, v35
	v_sub_f16_e32 v35, v57, v38
	v_fma_f16 v38, v21, 0x3abb, -v48
	v_add_f16_e32 v37, v40, v37
	v_add_f16_e32 v40, v45, v59
	v_mul_f16_e32 v64, 0xbbad, v21
	v_add_f16_e32 v66, v74, v66
	v_fma_f16 v74, v22, 0xbbad, -v78
	v_add_f16_e32 v29, v35, v29
	v_sub_f16_e32 v35, v61, v42
	v_add_f16_e32 v38, v38, v41
	v_add_f16_e32 v37, v40, v37
	v_fma_f16 v40, v25, 0xb93d, -v50
	v_add_f16_e32 v41, v43, v65
	v_fmac_f16_e32 v63, 0xb93d, v18
	v_add_f16_e32 v66, v74, v66
	v_fma_f16 v74, v21, 0x36a6, -v80
	v_add_f16_e32 v29, v35, v29
	v_sub_f16_e32 v35, v64, v39
	v_add_f16_e32 v39, v40, v23
	v_fma_f16 v40, v24, 0xb08e, -v54
	v_add_f16_e32 v37, v41, v37
	v_add_f16_e32 v41, v63, v0
	v_fmac_f16_e32 v70, 0xb08e, v19
	v_add_f16_e32 v66, v74, v66
	v_pk_mul_f16 v74, 0x36a6b08e, v18
	v_add_f16_e32 v29, v35, v29
	v_add_f16_e32 v35, v40, v39
	v_fma_f16 v25, v25, 0xb08e, -v69
	v_fma_f16 v39, v26, 0x3abb, -v58
	v_add_f16_e32 v40, v70, v41
	v_fmac_f16_e32 v75, 0x3abb, v20
	v_pk_add_f16 v1, v1, v0
	v_pk_mul_f16 v82, 0xb93dbbad, v19
	v_add_f16_e32 v25, v25, v23
	v_fma_f16 v24, v24, 0xbbad, -v73
	v_add_f16_e32 v35, v39, v35
	v_add_f16_e32 v39, v75, v40
	v_pk_fma_f16 v40, 0xbbebbb47, v13, v74 op_sel:[0,0,1] op_sel_hi:[1,1,0]
	v_pk_add_f16 v1, v11, v1
	v_add_f16_e32 v24, v24, v25
	v_fma_f16 v25, v26, 0x36a6, -v77
	v_pk_fma_f16 v42, 0x3482ba0c, v14, v82 op_sel:[0,0,1] op_sel_hi:[1,1,0]
	s_wait_alu 0xfffe
	v_alignbit_b32 v41, s0, v40, 16
	v_pk_add_f16 v1, v12, v1
	v_pk_mul_f16 v83, 0xbbad36a6, v20
	v_fma_f16 v26, v27, 0xbbad, -v62
	v_add_f16_e32 v24, v25, v24
	v_fma_f16 v25, v27, 0x3abb, -v79
	v_pk_add_f16 v27, v41, v0
	v_alignbit_b32 v41, s0, v42, 16
	v_pk_add_f16 v1, v6, v1
	v_pk_fma_f16 v43, 0x3b473482, v15, v83 op_sel:[0,0,1] op_sel_hi:[1,1,0]
	v_add_f16_e32 v24, v25, v24
	v_fma_f16 v25, v28, 0xb93d, -v81
	v_pk_add_f16 v27, v41, v27
	v_pk_fma_f16 v41, 0xbbebbb47, v13, v74 op_sel:[0,0,1] op_sel_hi:[1,1,0] neg_lo:[0,1,0] neg_hi:[0,1,0]
	v_pk_add_f16 v1, v7, v1
	v_alignbit_b32 v28, s0, v43, 16
	v_add_f16_e32 v24, v25, v24
	v_pk_fma_f16 v25, 0x3482ba0c, v14, v82 op_sel:[0,0,1] op_sel_hi:[1,1,0] neg_lo:[0,1,0] neg_hi:[0,1,0]
	v_pk_mul_f16 v84, 0xb08e3abb, v22
	v_pk_add_f16 v1, v4, v1
	v_bfi_b32 v4, 0xffff, v40, v41
	v_pk_add_f16 v11, v28, v27
	v_add_f16_e32 v23, v41, v23
	v_fmac_f16_e32 v44, 0x36a6, v18
	v_pk_fma_f16 v27, 0x3b473482, v15, v83 op_sel:[0,0,1] op_sel_hi:[1,1,0] neg_lo:[0,1,0] neg_hi:[0,1,0]
	v_pk_add_f16 v1, v5, v1
	v_pk_add_f16 v4, v4, v0 op_sel:[0,1] op_sel_hi:[1,0]
	v_bfi_b32 v5, 0xffff, v42, v25
	v_pk_fma_f16 v12, 0xb8533beb, v16, v84 op_sel:[0,0,1] op_sel_hi:[1,1,0]
	v_add_f16_e32 v23, v25, v23
	v_add_f16_e32 v28, v44, v0
	v_pk_fma_f16 v44, 0xb8533beb, v16, v84 op_sel:[0,0,1] op_sel_hi:[1,1,0] neg_lo:[0,1,0] neg_hi:[0,1,0]
	v_pk_add_f16 v1, v2, v1
	v_pk_add_f16 v2, v5, v4
	v_bfi_b32 v4, 0xffff, v43, v27
	v_pk_mul_f16 v5, 0xbbad, v18 op_sel_hi:[0,1]
	v_pk_mul_f16 v52, 0x3abbb93d, v21
	v_fmac_f16_e32 v46, 0xb93d, v19
	v_add_f16_e32 v23, v27, v23
	v_and_b32_e32 v25, 0xffff, v36
	v_pk_add_f16 v1, v3, v1
	v_pk_add_f16 v2, v4, v2
	v_pk_fma_f16 v3, 0xb482, v13, v5 op_sel:[0,0,1] op_sel_hi:[0,1,0] neg_lo:[0,1,0] neg_hi:[0,1,0]
	v_pk_mul_f16 v4, 0x3abb, v19 op_sel_hi:[0,1]
	v_bfi_b32 v19, 0xffff, v12, v44
	v_alignbit_b32 v6, s0, v0, 16
	v_add_f16_e32 v7, v46, v28
	v_pk_fma_f16 v28, 0xba0c3853, v17, v52 op_sel:[0,0,1] op_sel_hi:[1,1,0] neg_lo:[0,1,0] neg_hi:[0,1,0]
	v_add_f16_e32 v23, v44, v23
	v_add_lshl_u32 v18, v33, v25, 2
	v_pk_add_f16 v1, v9, v1
	v_pk_fma_f16 v9, 0xba0c3853, v17, v52 op_sel:[0,0,1] op_sel_hi:[1,1,0]
	v_alignbit_b32 v25, s0, v3, 16
	v_pk_fma_f16 v27, 0x3853, v14, v4 op_sel:[0,0,1] op_sel_hi:[0,1,0] neg_lo:[0,1,0] neg_hi:[0,1,0]
	v_pk_add_f16 v2, v19, v2
	v_pk_mul_f16 v19, 0xb93d, v20 op_sel_hi:[0,1]
	v_pk_fma_f16 v5, 0xb482, v13, v5 op_sel:[0,0,1] op_sel_hi:[0,1,0]
	v_fmac_f16_e32 v78, 0xbbad, v22
	v_fmac_f16_e32 v47, 0xbbad, v20
	;; [unrolled: 1-line block ×3, first 2 shown]
	v_add_f16_e32 v23, v28, v23
	v_bfi_b32 v9, 0xffff, v9, v28
	v_pk_add_f16 v20, v25, v0
	v_alignbit_b32 v25, s0, v27, 16
	v_pack_b32_f16 v28, v29, v37
	v_pk_fma_f16 v29, 0xba0c, v15, v19 op_sel:[0,0,1] op_sel_hi:[0,1,0] neg_lo:[0,1,0] neg_hi:[0,1,0]
	v_pk_mul_f16 v22, 0x36a6, v22 op_sel_hi:[0,1]
	v_pk_add_f16 v3, v3, v6
	v_pk_add_f16 v0, v5, v0 op_sel:[0,1] op_sel_hi:[1,0]
	v_pk_fma_f16 v4, 0x3853, v14, v4 op_sel:[0,0,1] op_sel_hi:[0,1,0]
	v_fmac_f16_e32 v80, 0x36a6, v21
	v_fmac_f16_e32 v48, 0x3abb, v21
	v_pk_add_f16 v2, v9, v2
	v_pk_add_f16 v9, v25, v20
	v_alignbit_b32 v13, s0, v29, 16
	v_pk_fma_f16 v20, 0x3b47, v16, v22 op_sel:[0,0,1] op_sel_hi:[0,1,0] neg_lo:[0,1,0] neg_hi:[0,1,0]
	v_pk_mul_f16 v21, 0xb08e, v21 op_sel_hi:[0,1]
	v_pk_add_f16 v3, v27, v3
	v_pk_add_f16 v0, v4, v0
	v_pk_fma_f16 v4, 0xba0c, v15, v19 op_sel:[0,0,1] op_sel_hi:[0,1,0]
	v_mul_f16_e32 v67, 0x3b47, v17
	v_pk_mul_f16 v45, 0xba0c3853, v17
	v_lshlrev_b32_e32 v11, 16, v11
	v_pk_add_f16 v5, v13, v9
	v_alignbit_b32 v6, s0, v20, 16
	v_pk_fma_f16 v9, 0xbbeb, v17, v21 op_sel:[0,0,1] op_sel_hi:[0,1,0] neg_lo:[0,1,0] neg_hi:[0,1,0]
	v_pk_add_f16 v3, v29, v3
	v_pk_add_f16 v0, v4, v0
	v_pk_fma_f16 v4, 0x3b47, v16, v22 op_sel:[0,0,1] op_sel_hi:[0,1,0]
	v_pk_add_f16 v13, v68, v67 neg_lo:[0,1] neg_hi:[0,1]
	v_pk_add_f16 v11, v12, v11
	v_pack_b32_f16 v12, v26, v52
	v_bfi_b32 v14, 0xffff, v35, v45
	v_add_f16_e32 v7, v47, v7
	v_pk_add_f16 v5, v6, v5
	v_alignbit_b32 v6, s0, v9, 16
	v_pk_add_f16 v3, v20, v3
	v_pk_add_f16 v0, v4, v0
	v_pk_fma_f16 v4, 0xbbeb, v17, v21 op_sel:[0,0,1] op_sel_hi:[0,1,0]
	v_add_f16_e32 v39, v78, v39
	v_bfi_b32 v11, 0xffff, v13, v11
	v_pk_add_f16 v12, v12, v14
	v_add_f16_e32 v7, v49, v7
	v_pk_add_f16 v3, v9, v3
	v_pk_add_f16 v0, v4, v0
	;; [unrolled: 1-line block ×3, first 2 shown]
	v_add_f16_e32 v39, v80, v39
	v_pk_add_f16 v5, v11, v12
	v_add_f16_e32 v7, v48, v7
	v_alignbit_b32 v13, v72, v2, 16
	v_pack_b32_f16 v2, v38, v2
	v_pack_b32_f16 v6, v66, v55
	v_alignbit_b32 v3, v3, v0, 16
	v_pack_b32_f16 v0, v4, v0
	v_alignbit_b32 v4, v24, v5, 16
	v_pack_b32_f16 v5, v39, v5
	v_pack_b32_f16 v7, v7, v23
	v_perm_b32 v9, v30, v10, 0x5040100
	ds_store_2addr_b32 v18, v1, v28 offset1:1
	ds_store_2addr_b32 v18, v2, v13 offset0:2 offset1:3
	ds_store_b32 v18, v6 offset:16
	ds_store_2addr_b32 v18, v0, v3 offset0:5 offset1:6
	ds_store_2addr_b32 v18, v5, v4 offset0:7 offset1:8
	;; [unrolled: 1-line block ×3, first 2 shown]
.LBB0_7:
	s_wait_alu 0xfffe
	s_or_b32 exec_lo, exec_lo, s0
	v_and_b32_e32 v0, 0xff, v31
	s_load_b128 s[4:7], s[4:5], 0x0
	global_wb scope:SCOPE_SE
	s_wait_dscnt 0x0
	s_wait_kmcnt 0x0
	s_barrier_signal -1
	s_barrier_wait -1
	v_mul_lo_u16 v0, 0x75, v0
	global_inv scope:SCOPE_SE
	v_add_lshl_u32 v37, v33, v31, 2
	v_cmp_gt_u16_e64 s0, 11, v31
	v_lshrrev_b16 v0, 8, v0
	s_delay_alu instid0(VALU_DEP_3) | instskip(NEXT) | instid1(VALU_DEP_2)
	v_add_nc_u32_e32 v19, 0x400, v37
	v_sub_nc_u16 v1, v31, v0
	s_delay_alu instid0(VALU_DEP_1) | instskip(NEXT) | instid1(VALU_DEP_1)
	v_lshrrev_b16 v1, 1, v1
	v_and_b32_e32 v1, 0x7f, v1
	s_delay_alu instid0(VALU_DEP_1) | instskip(NEXT) | instid1(VALU_DEP_1)
	v_add_nc_u16 v0, v1, v0
	v_lshrrev_b16 v9, 3, v0
	s_delay_alu instid0(VALU_DEP_1) | instskip(SKIP_1) | instid1(VALU_DEP_2)
	v_mul_lo_u16 v0, v9, 11
	v_and_b32_e32 v9, 0xffff, v9
	v_sub_nc_u16 v0, v31, v0
	s_delay_alu instid0(VALU_DEP_2) | instskip(NEXT) | instid1(VALU_DEP_2)
	v_mul_u32_u24_e32 v9, 0x6e, v9
	v_and_b32_e32 v21, 0xff, v0
	s_delay_alu instid0(VALU_DEP_1) | instskip(NEXT) | instid1(VALU_DEP_3)
	v_mad_co_u64_u32 v[11:12], null, v21, 36, s[2:3]
	v_add_nc_u32_e32 v9, v9, v21
	s_clause 0x2
	global_load_b128 v[4:7], v[11:12], off
	global_load_b128 v[0:3], v[11:12], off offset:16
	global_load_b32 v40, v[11:12], off offset:32
	ds_load_2addr_b32 v[11:12], v37 offset1:33
	ds_load_2addr_b32 v[13:14], v37 offset0:66 offset1:99
	ds_load_2addr_b32 v[15:16], v37 offset0:132 offset1:165
	ds_load_2addr_b32 v[17:18], v37 offset0:198 offset1:231
	ds_load_2addr_b32 v[19:20], v19 offset0:8 offset1:41
	v_add_lshl_u32 v38, v33, v9, 2
	global_wb scope:SCOPE_SE
	s_wait_loadcnt_dscnt 0x0
	s_barrier_signal -1
	s_barrier_wait -1
	global_inv scope:SCOPE_SE
	v_lshrrev_b32_e32 v23, 16, v12
	v_lshrrev_b32_e32 v24, 16, v13
	;; [unrolled: 1-line block ×19, first 2 shown]
	v_mul_f16_e32 v9, v23, v57
	v_mul_f16_e32 v39, v12, v57
	;; [unrolled: 1-line block ×18, first 2 shown]
	v_fma_f16 v9, v12, v4, -v9
	v_fmac_f16_e32 v39, v23, v4
	v_fma_f16 v12, v13, v5, -v41
	v_fmac_f16_e32 v42, v24, v5
	;; [unrolled: 2-line block ×9, first 2 shown]
	v_add_f16_e32 v20, v11, v12
	v_add_f16_e32 v21, v14, v16
	v_sub_f16_e32 v25, v12, v14
	v_sub_f16_e32 v26, v18, v16
	;; [unrolled: 1-line block ×4, first 2 shown]
	v_add_f16_e32 v35, v22, v42
	v_sub_f16_e32 v48, v42, v51
	v_sub_f16_e32 v53, v63, v59
	v_add_f16_e32 v62, v9, v13
	v_add_f16_e32 v64, v15, v17
	;; [unrolled: 1-line block ×6, first 2 shown]
	v_sub_f16_e32 v23, v42, v63
	v_sub_f16_e32 v24, v51, v59
	v_add_f16_e32 v27, v12, v18
	v_add_f16_e32 v41, v51, v59
	v_sub_f16_e32 v43, v14, v16
	v_add_f16_e32 v58, v42, v63
	v_sub_f16_e32 v42, v51, v42
	v_sub_f16_e32 v66, v44, v65
	;; [unrolled: 1-line block ×6, first 2 shown]
	v_add_f16_e32 v14, v20, v14
	v_fma_f16 v20, -0.5, v21, v11
	v_add_f16_e32 v21, v25, v26
	v_add_f16_e32 v25, v28, v29
	;; [unrolled: 1-line block ×5, first 2 shown]
	v_fma_f16 v35, -0.5, v64, v9
	v_add_f16_e32 v48, v73, v56
	v_fma_f16 v51, -0.5, v74, v39
	v_sub_f16_e32 v60, v59, v63
	v_sub_f16_e32 v67, v56, v61
	v_fmac_f16_e32 v9, -0.5, v70
	v_fmac_f16_e32 v39, -0.5, v78
	v_sub_f16_e32 v69, v19, v17
	v_sub_f16_e32 v72, v17, v19
	;; [unrolled: 1-line block ×5, first 2 shown]
	v_fmac_f16_e32 v11, -0.5, v27
	v_fma_f16 v27, -0.5, v41, v22
	v_fmac_f16_e32 v22, -0.5, v58
	v_add_f16_e32 v15, v15, v17
	v_fmamk_f16 v17, v66, 0x3b9c, v35
	v_add_f16_e32 v48, v48, v61
	v_fmamk_f16 v61, v13, 0xbb9c, v51
	v_sub_f16_e32 v44, v56, v44
	v_add_f16_e32 v29, v42, v60
	v_fmamk_f16 v60, v67, 0xbb9c, v9
	v_fmac_f16_e32 v9, 0x3b9c, v67
	v_fmamk_f16 v62, v75, 0x3b9c, v39
	v_fmac_f16_e32 v39, 0xbb9c, v75
	v_sub_f16_e32 v12, v12, v18
	v_fmac_f16_e32 v35, 0xbb9c, v66
	v_fmac_f16_e32 v51, 0x3b9c, v13
	v_add_f16_e32 v41, v68, v69
	v_add_f16_e32 v53, v76, v77
	;; [unrolled: 1-line block ×4, first 2 shown]
	v_fmamk_f16 v59, v43, 0x3b9c, v22
	v_fmac_f16_e32 v22, 0xbb9c, v43
	v_fmac_f16_e32 v17, 0x38b4, v67
	;; [unrolled: 1-line block ×3, first 2 shown]
	v_add_f16_e32 v42, v71, v72
	v_add_f16_e32 v44, v44, v79
	v_fmamk_f16 v16, v23, 0x3b9c, v20
	v_fmac_f16_e32 v20, 0xbb9c, v23
	v_fmamk_f16 v56, v24, 0xbb9c, v11
	v_fmac_f16_e32 v11, 0x3b9c, v24
	v_fmac_f16_e32 v60, 0x38b4, v66
	;; [unrolled: 1-line block ×5, first 2 shown]
	v_fmamk_f16 v58, v12, 0xbb9c, v27
	v_fmac_f16_e32 v27, 0x3b9c, v12
	v_fmac_f16_e32 v35, 0xb8b4, v67
	v_fmac_f16_e32 v51, 0x38b4, v75
	v_add_f16_e32 v14, v14, v18
	v_add_f16_e32 v18, v26, v63
	v_fmac_f16_e32 v59, 0xb8b4, v12
	v_fmac_f16_e32 v22, 0x38b4, v12
	v_add_f16_e32 v12, v15, v19
	v_add_f16_e32 v15, v48, v65
	v_fmac_f16_e32 v17, 0x34f2, v41
	v_fmac_f16_e32 v61, 0x34f2, v53
	v_fmac_f16_e32 v16, 0x38b4, v24
	v_fmac_f16_e32 v20, 0xb8b4, v24
	v_fmac_f16_e32 v56, 0x38b4, v23
	v_fmac_f16_e32 v11, 0xb8b4, v23
	v_fmac_f16_e32 v60, 0x34f2, v42
	v_fmac_f16_e32 v9, 0x34f2, v42
	v_fmac_f16_e32 v62, 0x34f2, v44
	v_fmac_f16_e32 v39, 0x34f2, v44
	v_fmac_f16_e32 v58, 0xb8b4, v43
	v_fmac_f16_e32 v27, 0x38b4, v43
	v_fmac_f16_e32 v35, 0x34f2, v41
	v_fmac_f16_e32 v51, 0x34f2, v53
	v_add_f16_e32 v13, v14, v12
	v_add_f16_e32 v19, v18, v15
	v_sub_f16_e32 v12, v14, v12
	v_sub_f16_e32 v14, v18, v15
	v_mul_f16_e32 v15, 0x38b4, v61
	v_mul_f16_e32 v24, 0xb8b4, v17
	v_fmac_f16_e32 v16, 0x34f2, v21
	v_fmac_f16_e32 v20, 0x34f2, v21
	v_fmac_f16_e32 v56, 0x34f2, v25
	v_fmac_f16_e32 v11, 0x34f2, v25
	v_mul_f16_e32 v18, 0x3b9c, v62
	v_mul_f16_e32 v21, 0x34f2, v9
	;; [unrolled: 1-line block ×4, first 2 shown]
	v_fmac_f16_e32 v58, 0x34f2, v28
	v_fmac_f16_e32 v27, 0x34f2, v28
	v_mul_f16_e32 v23, 0x3a79, v35
	v_mul_f16_e32 v28, 0x3a79, v51
	v_fmac_f16_e32 v15, 0x3a79, v17
	v_fmac_f16_e32 v24, 0x3a79, v61
	;; [unrolled: 1-line block ×4, first 2 shown]
	v_pack_b32_f16 v13, v13, v19
	v_pack_b32_f16 v12, v12, v14
	v_fmac_f16_e32 v18, 0x34f2, v60
	v_fma_f16 v14, v39, 0x3b9c, -v21
	v_fmac_f16_e32 v25, 0x34f2, v62
	v_fma_f16 v19, v9, 0xbb9c, -v26
	v_fma_f16 v17, v51, 0x38b4, -v23
	;; [unrolled: 1-line block ×3, first 2 shown]
	v_add_f16_e32 v23, v16, v15
	v_add_f16_e32 v35, v58, v24
	;; [unrolled: 1-line block ×8, first 2 shown]
	v_sub_f16_e32 v15, v16, v15
	v_sub_f16_e32 v16, v56, v18
	;; [unrolled: 1-line block ×8, first 2 shown]
	v_pack_b32_f16 v19, v23, v35
	v_pack_b32_f16 v20, v26, v41
	;; [unrolled: 1-line block ×8, first 2 shown]
	ds_store_2addr_b32 v38, v13, v19 offset1:11
	ds_store_2addr_b32 v38, v20, v21 offset0:22 offset1:33
	ds_store_2addr_b32 v38, v22, v12 offset0:44 offset1:55
	ds_store_2addr_b32 v38, v14, v15 offset0:66 offset1:77
	ds_store_2addr_b32 v38, v11, v16 offset0:88 offset1:99
	global_wb scope:SCOPE_SE
	s_wait_dscnt 0x0
	s_barrier_signal -1
	s_barrier_wait -1
	global_inv scope:SCOPE_SE
	ds_load_2addr_b32 v[23:24], v37 offset1:33
	ds_load_2addr_b32 v[21:22], v37 offset0:66 offset1:110
	ds_load_2addr_b32 v[25:26], v37 offset0:220 offset1:253
	;; [unrolled: 1-line block ×3, first 2 shown]
	ds_load_b32 v27, v37 offset:1144
                                        ; implicit-def: $vgpr62
                                        ; implicit-def: $vgpr64
	s_and_saveexec_b32 s1, s0
	s_cbranch_execz .LBB0_9
; %bb.8:
	ds_load_2addr_b32 v[9:10], v37 offset0:99 offset1:209
	ds_load_b32 v62, v37 offset:1276
	s_wait_dscnt 0x1
	v_lshrrev_b32_e32 v39, 16, v9
	v_lshrrev_b32_e32 v30, 16, v10
	s_wait_dscnt 0x0
	v_lshrrev_b32_e32 v64, 16, v62
.LBB0_9:
	s_wait_alu 0xfffe
	s_or_b32 exec_lo, exec_lo, s1
	v_lshlrev_b32_e32 v11, 3, v31
	v_add_co_u32 v28, s1, 0x63, v31
	s_wait_dscnt 0x2
	v_lshrrev_b32_e32 v42, 16, v26
	s_wait_dscnt 0x1
	v_lshrrev_b32_e32 v41, 16, v19
	v_add_nc_u32_e32 v12, 0x108, v11
	global_load_b64 v[15:16], v11, s[2:3] offset:396
	v_lshrrev_b32_e32 v63, 16, v20
	s_wait_dscnt 0x0
	v_lshrrev_b32_e32 v65, 16, v27
	v_lshrrev_b32_e32 v61, 16, v23
	global_load_b64 v[17:18], v12, s[2:3] offset:396
	v_add_nc_u32_e32 v11, 0x210, v11
	s_wait_alu 0xf1ff
	v_add_co_ci_u32_e64 v12, null, 0, 0, s1
	v_lshrrev_b32_e32 v60, 16, v24
	v_lshrrev_b32_e32 v59, 16, v21
	global_load_b64 v[13:14], v11, s[2:3] offset:396
	v_add_co_u32 v11, s1, v31, -11
	s_wait_alu 0xf1ff
	v_add_co_ci_u32_e64 v29, null, 0, -1, s1
	v_lshl_add_u32 v35, v31, 2, v34
	s_delay_alu instid0(VALU_DEP_3) | instskip(SKIP_1) | instid1(VALU_DEP_4)
	v_cndmask_b32_e64 v11, v11, v28, s0
	v_lshrrev_b32_e32 v28, 16, v22
	v_cndmask_b32_e64 v12, v29, v12, s0
	v_lshrrev_b32_e32 v29, 16, v25
	v_add_nc_u32_e32 v58, v32, v34
	s_delay_alu instid0(VALU_DEP_3) | instskip(NEXT) | instid1(VALU_DEP_1)
	v_lshlrev_b64_e32 v[11:12], 3, v[11:12]
	v_add_co_u32 v11, s1, s2, v11
	s_wait_alu 0xf1ff
	s_delay_alu instid0(VALU_DEP_2)
	v_add_co_ci_u32_e64 v12, s1, s3, v12, s1
	global_load_b64 v[11:12], v[11:12], off offset:396
	s_wait_loadcnt 0x3
	v_lshrrev_b32_e32 v44, 16, v15
	v_lshrrev_b32_e32 v43, 16, v16
	s_wait_loadcnt 0x2
	v_lshrrev_b32_e32 v56, 16, v17
	s_delay_alu instid0(VALU_DEP_3) | instskip(NEXT) | instid1(VALU_DEP_3)
	v_mul_f16_e32 v66, v28, v44
	v_mul_f16_e32 v68, v29, v43
	;; [unrolled: 1-line block ×3, first 2 shown]
	v_lshrrev_b32_e32 v53, 16, v18
	v_mul_f16_e32 v67, v22, v44
	s_wait_loadcnt 0x1
	v_lshrrev_b32_e32 v51, 16, v13
	v_lshrrev_b32_e32 v48, 16, v14
	v_fma_f16 v22, v22, v15, -v66
	v_fma_f16 v25, v25, v16, -v68
	v_fmac_f16_e32 v69, v29, v16
	v_mul_f16_e32 v29, v19, v56
	v_mul_f16_e32 v66, v42, v53
	v_mul_f16_e32 v70, v26, v53
	v_fmac_f16_e32 v67, v28, v15
	v_mul_f16_e32 v28, v41, v56
	v_mul_f16_e32 v68, v63, v51
	;; [unrolled: 1-line block ×5, first 2 shown]
	v_fmac_f16_e32 v29, v41, v17
	v_fma_f16 v66, v26, v18, -v66
	v_fmac_f16_e32 v70, v42, v18
	v_add_f16_e32 v26, v22, v25
	v_fma_f16 v28, v19, v17, -v28
	v_fma_f16 v20, v20, v13, -v68
	v_fmac_f16_e32 v71, v63, v13
	v_fma_f16 v63, v27, v14, -v72
	v_fmac_f16_e32 v73, v65, v14
	v_add_f16_e32 v19, v23, v22
	v_sub_f16_e32 v65, v67, v69
	v_add_f16_e32 v68, v61, v67
	s_wait_loadcnt 0x0
	v_lshrrev_b32_e32 v42, 16, v11
	v_lshrrev_b32_e32 v41, 16, v12
	v_add_f16_e32 v67, v67, v69
	v_fma_f16 v27, -0.5, v26, v23
	v_sub_f16_e32 v22, v22, v25
	v_mul_f16_e32 v79, v30, v42
	v_mul_f16_e32 v80, v10, v42
	v_mul_f16_e32 v81, v64, v41
	v_mul_f16_e32 v82, v62, v41
	v_add_f16_e32 v25, v19, v25
	v_add_f16_e32 v19, v68, v69
	v_fmac_f16_e32 v61, -0.5, v67
	v_add_f16_e32 v67, v28, v66
	v_sub_f16_e32 v69, v29, v70
	v_add_f16_e32 v72, v60, v29
	v_add_f16_e32 v29, v29, v70
	;; [unrolled: 1-line block ×3, first 2 shown]
	v_sub_f16_e32 v77, v71, v73
	v_add_f16_e32 v78, v59, v71
	v_add_f16_e32 v71, v71, v73
	v_fmamk_f16 v26, v65, 0x3aee, v27
	v_fmac_f16_e32 v27, 0xbaee, v65
	v_fma_f16 v10, v10, v11, -v79
	v_fmac_f16_e32 v80, v30, v11
	v_fma_f16 v65, v62, v12, -v81
	v_fmac_f16_e32 v82, v64, v12
	v_add_f16_e32 v23, v24, v28
	v_add_f16_e32 v76, v20, v63
	v_sub_f16_e32 v74, v28, v66
	v_sub_f16_e32 v20, v20, v63
	v_fmamk_f16 v68, v22, 0xbaee, v61
	v_fmac_f16_e32 v61, 0x3aee, v22
	v_fmac_f16_e32 v24, -0.5, v67
	v_add_f16_e32 v67, v72, v70
	v_fmac_f16_e32 v60, -0.5, v29
	v_add_f16_e32 v29, v75, v63
	;; [unrolled: 2-line block ×3, first 2 shown]
	v_add_f16_e32 v75, v80, v82
	v_add_f16_e32 v28, v23, v66
	v_fmac_f16_e32 v21, -0.5, v76
	v_add_f16_e32 v63, v78, v73
	v_fmamk_f16 v23, v69, 0x3aee, v24
	v_fmac_f16_e32 v24, 0xbaee, v69
	v_fmamk_f16 v69, v74, 0xbaee, v60
	v_fmac_f16_e32 v60, 0x3aee, v74
	;; [unrolled: 2-line block ×3, first 2 shown]
	v_pack_b32_f16 v20, v26, v68
	v_pack_b32_f16 v64, v27, v61
	v_add_f16_e32 v71, v9, v10
	v_sub_f16_e32 v73, v80, v82
	v_add_f16_e32 v74, v39, v80
	v_sub_f16_e32 v10, v10, v65
	v_fmac_f16_e32 v9, -0.5, v72
	v_fmac_f16_e32 v39, -0.5, v75
	v_pack_b32_f16 v22, v25, v19
	v_pack_b32_f16 v66, v28, v67
	v_fmamk_f16 v30, v77, 0x3aee, v21
	v_fmac_f16_e32 v21, 0xbaee, v77
	ds_store_2addr_b32 v35, v20, v64 offset0:110 offset1:220
	ds_store_2addr_b32 v35, v22, v66 offset1:33
	v_pack_b32_f16 v20, v23, v69
	v_add_f16_e32 v22, v71, v65
	v_add_f16_e32 v66, v74, v82
	v_fmamk_f16 v64, v73, 0x3aee, v9
	v_fmac_f16_e32 v9, 0xbaee, v73
	v_fmamk_f16 v65, v10, 0xbaee, v39
	v_fmac_f16_e32 v39, 0x3aee, v10
	v_pack_b32_f16 v76, v24, v60
	v_pack_b32_f16 v70, v29, v63
	;; [unrolled: 1-line block ×4, first 2 shown]
	ds_store_b32 v58, v20 offset:572
	ds_store_b32 v58, v76 offset:1012
	ds_store_b32 v35, v70 offset:264
	ds_store_b32 v58, v77 offset:704
	ds_store_b32 v58, v72 offset:1144
	s_and_saveexec_b32 s1, s0
	s_cbranch_execz .LBB0_11
; %bb.10:
	v_perm_b32 v10, v66, v22, 0x5040100
	v_perm_b32 v20, v65, v64, 0x5040100
	v_perm_b32 v70, v39, v9, 0x5040100
	ds_store_2addr_b32 v35, v10, v20 offset0:99 offset1:209
	ds_store_b32 v35, v70 offset:1276
.LBB0_11:
	s_wait_alu 0xfffe
	s_or_b32 exec_lo, exec_lo, s1
	global_wb scope:SCOPE_SE
	s_wait_dscnt 0x0
	s_barrier_signal -1
	s_barrier_wait -1
	global_inv scope:SCOPE_SE
	s_and_saveexec_b32 s1, vcc_lo
	s_cbranch_execz .LBB0_13
; %bb.12:
	s_add_nc_u64 s[2:3], s[10:11], 0x528
	s_clause 0xa
	global_load_b32 v10, v32, s[10:11] offset:1320
	global_load_b32 v20, v32, s[2:3] offset:120
	;; [unrolled: 1-line block ×11, first 2 shown]
	v_add_nc_u32_e32 v89, 0x200, v35
	ds_load_2addr_b32 v[70:71], v35 offset1:30
	ds_load_2addr_b32 v[72:73], v35 offset0:60 offset1:90
	ds_load_2addr_b32 v[74:75], v35 offset0:120 offset1:150
	;; [unrolled: 1-line block ×3, first 2 shown]
	ds_load_b32 v90, v35 offset:1200
	ds_load_2addr_b32 v[78:79], v89 offset0:112 offset1:142
	s_wait_dscnt 0x5
	v_lshrrev_b32_e32 v91, 16, v70
	v_lshrrev_b32_e32 v92, 16, v71
	s_wait_dscnt 0x4
	v_lshrrev_b32_e32 v93, 16, v72
	v_lshrrev_b32_e32 v94, 16, v73
	;; [unrolled: 3-line block ×5, first 2 shown]
	v_lshrrev_b32_e32 v99, 16, v90
	s_wait_loadcnt 0xa
	v_lshrrev_b32_e32 v102, 16, v10
	s_wait_loadcnt 0x9
	v_lshrrev_b32_e32 v103, 16, v20
	s_wait_loadcnt 0x8
	v_lshrrev_b32_e32 v104, 16, v80
	s_wait_loadcnt 0x7
	v_lshrrev_b32_e32 v105, 16, v81
	s_wait_loadcnt 0x6
	v_lshrrev_b32_e32 v106, 16, v82
	s_wait_loadcnt 0x5
	v_lshrrev_b32_e32 v107, 16, v83
	s_wait_loadcnt 0x4
	v_lshrrev_b32_e32 v108, 16, v84
	s_wait_loadcnt 0x3
	v_lshrrev_b32_e32 v109, 16, v85
	s_wait_loadcnt 0x2
	v_lshrrev_b32_e32 v110, 16, v86
	s_wait_loadcnt 0x1
	v_lshrrev_b32_e32 v111, 16, v87
	s_wait_loadcnt 0x0
	v_lshrrev_b32_e32 v112, 16, v88
	v_mul_f16_e32 v113, v91, v102
	v_mul_f16_e32 v102, v70, v102
	;; [unrolled: 1-line block ×22, first 2 shown]
	v_fma_f16 v70, v70, v10, -v113
	v_fmac_f16_e32 v102, v91, v10
	v_fma_f16 v10, v71, v20, -v114
	v_fmac_f16_e32 v103, v92, v20
	v_fma_f16 v20, v72, v80, -v115
	v_fmac_f16_e32 v104, v93, v80
	v_fma_f16 v71, v73, v81, -v116
	v_fmac_f16_e32 v105, v94, v81
	v_fma_f16 v72, v74, v82, -v117
	v_fmac_f16_e32 v106, v95, v82
	v_fma_f16 v73, v75, v83, -v118
	v_fmac_f16_e32 v107, v96, v83
	v_fma_f16 v74, v76, v84, -v119
	v_fmac_f16_e32 v108, v97, v84
	v_fma_f16 v75, v77, v85, -v120
	v_fmac_f16_e32 v109, v98, v85
	v_fma_f16 v76, v78, v86, -v121
	v_fmac_f16_e32 v110, v100, v86
	v_fma_f16 v77, v79, v87, -v122
	v_fmac_f16_e32 v111, v101, v87
	v_fma_f16 v78, v90, v88, -v123
	v_fmac_f16_e32 v112, v99, v88
	v_pack_b32_f16 v70, v70, v102
	v_pack_b32_f16 v10, v10, v103
	v_pack_b32_f16 v20, v20, v104
	v_pack_b32_f16 v71, v71, v105
	v_pack_b32_f16 v72, v72, v106
	v_pack_b32_f16 v73, v73, v107
	v_pack_b32_f16 v74, v74, v108
	v_pack_b32_f16 v75, v75, v109
	v_pack_b32_f16 v76, v76, v110
	v_pack_b32_f16 v77, v77, v111
	v_pack_b32_f16 v78, v78, v112
	ds_store_2addr_b32 v35, v70, v10 offset1:30
	ds_store_2addr_b32 v35, v20, v71 offset0:60 offset1:90
	ds_store_2addr_b32 v35, v72, v73 offset0:120 offset1:150
	;; [unrolled: 1-line block ×4, first 2 shown]
	ds_store_b32 v35, v78 offset:1200
.LBB0_13:
	s_wait_alu 0xfffe
	s_or_b32 exec_lo, exec_lo, s1
	global_wb scope:SCOPE_SE
	s_wait_dscnt 0x0
	s_barrier_signal -1
	s_barrier_wait -1
	global_inv scope:SCOPE_SE
	s_and_saveexec_b32 s1, vcc_lo
	s_cbranch_execz .LBB0_15
; %bb.14:
	v_add_nc_u32_e32 v10, 0x200, v35
	ds_load_2addr_b32 v[25:26], v35 offset1:30
	ds_load_2addr_b32 v[27:28], v35 offset0:60 offset1:90
	ds_load_2addr_b32 v[23:24], v35 offset0:120 offset1:150
	;; [unrolled: 1-line block ×4, first 2 shown]
	ds_load_b32 v64, v35 offset:1200
	s_wait_dscnt 0x5
	v_lshrrev_b32_e32 v19, 16, v25
	v_lshrrev_b32_e32 v68, 16, v26
	s_wait_dscnt 0x4
	v_lshrrev_b32_e32 v61, 16, v27
	v_lshrrev_b32_e32 v67, 16, v28
	;; [unrolled: 3-line block ×5, first 2 shown]
	s_wait_dscnt 0x0
	v_lshrrev_b32_e32 v65, 16, v64
.LBB0_15:
	s_wait_alu 0xfffe
	s_or_b32 exec_lo, exec_lo, s1
	s_delay_alu instid0(VALU_DEP_1)
	v_sub_f16_e32 v90, v68, v65
	v_add_f16_e32 v94, v65, v68
	v_add_f16_e32 v70, v64, v26
	v_sub_f16_e32 v73, v26, v64
	v_sub_f16_e32 v91, v61, v66
	v_mul_f16_e32 v80, 0xb853, v90
	v_mul_f16_e32 v86, 0x3abb, v94
	v_add_f16_e32 v92, v66, v61
	v_add_f16_e32 v71, v22, v27
	v_mul_f16_e32 v81, 0xbb47, v91
	v_fma_f16 v10, v70, 0x3abb, -v80
	v_fmamk_f16 v20, v73, 0xb853, v86
	v_sub_f16_e32 v72, v27, v22
	v_mul_f16_e32 v88, 0x36a6, v92
	v_sub_f16_e32 v93, v67, v59
	v_add_f16_e32 v10, v25, v10
	v_add_f16_e32 v20, v19, v20
	v_fma_f16 v76, v71, 0x36a6, -v81
	v_add_f16_e32 v95, v59, v67
	v_fmamk_f16 v77, v72, 0xbb47, v88
	v_add_f16_e32 v74, v21, v28
	v_mul_f16_e32 v82, 0xbbeb, v93
	v_sub_f16_e32 v75, v28, v21
	v_mul_f16_e32 v84, 0xb08e, v95
	v_add_f16_e32 v10, v76, v10
	v_add_f16_e32 v20, v77, v20
	v_sub_f16_e32 v96, v69, v62
	v_fma_f16 v77, v74, 0xb08e, -v82
	v_add_f16_e32 v97, v62, v69
	v_fmamk_f16 v78, v75, 0xbbeb, v84
	v_add_f16_e32 v76, v30, v23
	v_mul_f16_e32 v83, 0xba0c, v96
	v_add_f16_e32 v10, v77, v10
	v_sub_f16_e32 v77, v23, v30
	v_mul_f16_e32 v87, 0xb93d, v97
	v_sub_f16_e32 v98, v60, v63
	v_add_f16_e32 v99, v63, v60
	v_add_f16_e32 v20, v78, v20
	v_fma_f16 v100, v76, 0xb93d, -v83
	v_fmamk_f16 v101, v77, 0xba0c, v87
	v_add_f16_e32 v78, v29, v24
	v_sub_f16_e32 v79, v24, v29
	v_mul_f16_e32 v85, 0xb482, v98
	v_mul_f16_e32 v89, 0xbbad, v99
	v_add_f16_e32 v10, v100, v10
	v_add_f16_e32 v100, v101, v20
	global_wb scope:SCOPE_SE
	v_fma_f16 v20, v78, 0xbbad, -v85
	v_fmamk_f16 v101, v79, 0xb482, v89
	s_barrier_signal -1
	s_barrier_wait -1
	global_inv scope:SCOPE_SE
	v_add_f16_e32 v20, v20, v10
	v_add_f16_e32 v10, v101, v100
	s_and_saveexec_b32 s1, vcc_lo
	s_cbranch_execz .LBB0_17
; %bb.16:
	v_mul_f16_e32 v106, 0xbbad, v94
	v_mul_f16_e32 v109, 0xb482, v90
	;; [unrolled: 1-line block ×5, first 2 shown]
	v_fmamk_f16 v111, v73, 0x3482, v106
	v_fmamk_f16 v114, v70, 0xbbad, v109
	;; [unrolled: 1-line block ×4, first 2 shown]
	v_mul_f16_e32 v119, 0xba0c, v93
	v_add_f16_e32 v111, v19, v111
	v_add_f16_e32 v114, v25, v114
	v_mul_f16_e32 v101, 0xb853, v73
	v_mul_f16_e32 v120, 0x36a6, v97
	;; [unrolled: 1-line block ×3, first 2 shown]
	v_add_f16_e32 v111, v116, v111
	v_fmamk_f16 v116, v75, 0x3a0c, v117
	v_add_f16_e32 v114, v118, v114
	v_fmamk_f16 v118, v74, 0xb93d, v119
	v_mul_f16_e32 v100, 0x3abb, v70
	v_mul_f16_e32 v103, 0xbb47, v72
	v_sub_f16_e32 v86, v86, v101
	v_add_f16_e32 v26, v26, v25
	v_add_f16_e32 v111, v116, v111
	v_fmamk_f16 v116, v77, 0xbb47, v120
	v_mul_f16_e32 v122, 0xb08e, v99
	v_add_f16_e32 v114, v118, v114
	v_fmamk_f16 v118, v76, 0x36a6, v121
	v_mul_f16_e32 v123, 0xbbeb, v98
	v_mul_f16_e32 v102, 0x36a6, v71
	;; [unrolled: 1-line block ×3, first 2 shown]
	v_add_f16_e32 v86, v19, v86
	v_sub_f16_e32 v88, v88, v103
	v_add_f16_e32 v80, v100, v80
	v_add_f16_e32 v26, v27, v26
	;; [unrolled: 1-line block ×4, first 2 shown]
	v_fmamk_f16 v116, v79, 0x3beb, v122
	v_mul_f16_e32 v124, 0xb93d, v94
	v_add_f16_e32 v114, v118, v114
	v_fmamk_f16 v118, v78, 0xb08e, v123
	v_mul_f16_e32 v125, 0xba0c, v90
	v_mul_f16_e32 v104, 0xb08e, v74
	v_add_f16_e32 v86, v88, v86
	v_sub_f16_e32 v68, v84, v105
	v_add_f16_e32 v80, v25, v80
	v_add_f16_e32 v81, v102, v81
	;; [unrolled: 1-line block ×5, first 2 shown]
	v_fmamk_f16 v116, v73, 0x3a0c, v124
	v_mul_f16_e32 v126, 0xb08e, v92
	v_add_f16_e32 v114, v118, v114
	v_fmamk_f16 v118, v70, 0xb93d, v125
	v_mul_f16_e32 v127, 0x3beb, v91
	v_mul_f16_e32 v107, 0xb93d, v76
	v_add_f16_e32 v28, v68, v86
	v_add_f16_e32 v68, v81, v80
	;; [unrolled: 1-line block ×6, first 2 shown]
	v_fma_f16 v128, 0xbbeb, v72, v126
	v_mul_f16_e64 v129, 0x3abb, v95
	v_add_f16_e32 v118, v25, v118
	v_fma_f16 v130, 0xb08e, v71, v127
	v_mul_f16_e64 v131, 0xb853, v93
	v_mul_f16_e32 v110, 0xbbad, v78
	v_add_f16_e32 v23, v24, v23
	v_add_f16_e32 v24, v69, v26
	;; [unrolled: 1-line block ×4, first 2 shown]
	v_add_f16_e64 v116, v128, v116
	v_fma_f16 v128, 0x3853, v75, v129
	v_mul_f16_e64 v132, 0xbbad, v97
	v_add_f16_e64 v118, v130, v118
	v_fma_f16 v130, 0x3abb, v74, v131
	v_mul_f16_e64 v133, 0xb482, v96
	v_add_f16_e32 v23, v29, v23
	v_add_f16_e32 v24, v60, v24
	v_fmac_f16_e32 v106, 0xb482, v73
	v_add_f16_e32 v26, v27, v26
	v_add_f16_e32 v27, v110, v85
	v_add_f16_e64 v116, v128, v116
	v_fma_f16 v128, 0x3482, v77, v132
	v_mul_f16_e64 v134, 0x36a6, v99
	v_add_f16_e64 v118, v130, v118
	v_fma_f16 v130, 0xbbad, v76, v133
	v_mul_f16_e64 v135, 0x3b47, v98
	v_add_f16_e32 v23, v30, v23
	v_add_f16_e32 v24, v63, v24
	v_add_f16_e32 v29, v19, v106
	v_fmac_f16_e32 v112, 0x3853, v72
	v_add_f16_e32 v26, v27, v26
	v_fma_f16 v27, v70, 0xbbad, -v109
	v_add_f16_e64 v116, v128, v116
	v_fma_f16 v128, 0xbb47, v79, v134
	v_mul_f16_e64 v136, 0xb08e, v94
	v_add_f16_e64 v118, v130, v118
	v_fma_f16 v130, 0x36a6, v78, v135
	v_mul_f16_e64 v137, 0xbbeb, v90
	v_add_f16_e32 v21, v21, v23
	v_add_f16_e32 v23, v62, v24
	;; [unrolled: 1-line block ×3, first 2 shown]
	v_fmac_f16_e32 v117, 0xba0c, v75
	v_add_f16_e32 v27, v25, v27
	v_fma_f16 v29, v71, 0x3abb, -v115
	v_add_f16_e64 v116, v128, v116
	v_fma_f16 v128, 0x3beb, v73, v136
	v_mul_f16_e64 v138, 0xbbad, v92
	v_add_f16_e64 v118, v130, v118
	v_fma_f16 v130, 0xb08e, v70, v137
	v_mul_f16_e64 v139, 0x3482, v91
	v_add_f16_e32 v21, v22, v21
	v_add_f16_e32 v22, v59, v23
	;; [unrolled: 1-line block ×4, first 2 shown]
	v_fma_f16 v29, v70, 0xb93d, -v125
	v_add_f16_e64 v128, v19, v128
	v_fma_f16 v140, 0xb482, v72, v138
	v_mul_f16_e64 v141, 0x36a6, v95
	v_add_f16_e64 v130, v25, v130
	v_fma_f16 v142, 0xbbad, v71, v139
	v_mul_f16_e64 v143, 0x3b47, v93
	v_add_f16_e32 v29, v25, v29
	v_fma_f16 v30, v71, 0xb08e, -v127
	v_fmac_f16_e64 v136, 0xbbeb, v73
	v_add_f16_e64 v128, v140, v128
	v_fma_f16 v140, 0xbb47, v75, v141
	v_mul_f16_e64 v144, 0x3abb, v97
	v_add_f16_e64 v130, v142, v130
	v_fma_f16 v142, 0x36a6, v74, v143
	v_mul_f16_e64 v145, 0xb853, v96
	v_fma_f16 v27, v74, 0xb93d, -v119
	v_add_f16_e32 v29, v30, v29
	v_fma_f16 v30, v74, 0x3abb, -v131
	v_add_f16_e64 v60, v19, v136
	v_fmac_f16_e64 v138, 0x3482, v72
	v_add_f16_e64 v128, v140, v128
	v_fma_f16 v140, 0x3853, v77, v144
	v_mul_f16_e64 v146, 0xb93d, v99
	v_add_f16_e64 v130, v142, v130
	v_fma_f16 v142, 0x3abb, v76, v145
	v_mul_f16_e64 v147, 0xba0c, v98
	v_mul_f16_e32 v108, 0xba0c, v77
	v_add_f16_e32 v24, v27, v24
	v_fma_f16 v27, v76, 0x36a6, -v121
	v_add_f16_e32 v29, v30, v29
	v_fma_f16 v30, v76, 0xbbad, -v133
	v_add_f16_e64 v60, v138, v60
	v_fmac_f16_e64 v141, 0x3b47, v75
	v_add_f16_e64 v128, v140, v128
	v_fma_f16 v140, 0x3a0c, v79, v146
	v_mul_f16_e32 v94, 0x36a6, v94
	v_add_f16_e64 v130, v142, v130
	v_fma_f16 v142, 0xb93d, v78, v147
	v_mul_f16_e32 v90, 0xbb47, v90
	v_mul_f16_e32 v113, 0xb482, v79
	v_sub_f16_e32 v61, v87, v108
	v_add_f16_e32 v24, v27, v24
	v_fma_f16 v59, v78, 0xb08e, -v123
	v_add_f16_e32 v29, v30, v29
	v_fma_f16 v30, v78, 0x36a6, -v135
	v_add_f16_e64 v60, v141, v60
	v_fmac_f16_e64 v144, 0xb853, v77
	v_add_f16_e64 v128, v140, v128
	v_fma_f16 v140, 0x3b47, v73, v94
	v_mul_f16_e32 v92, 0xb93d, v92
	v_add_f16_e64 v130, v142, v130
	v_fma_f16 v142, 0x36a6, v70, v90
	v_mul_f16_e32 v91, 0xba0c, v91
	v_fmac_f16_e32 v124, 0xba0c, v73
	v_add_f16_e32 v28, v61, v28
	v_sub_f16_e32 v61, v89, v113
	v_add_f16_e32 v24, v59, v24
	v_add_f16_e32 v29, v30, v29
	v_fma_f16 v30, v70, 0xb08e, -v137
	v_add_f16_e64 v59, v144, v60
	v_fmac_f16_e32 v94, 0xbb47, v73
	v_fma_f16 v60, v70, 0x36a6, -v90
	v_add_f16_e64 v140, v19, v140
	v_fma_f16 v148, 0x3a0c, v72, v92
	v_mul_f16_e32 v95, 0xbbad, v95
	v_add_f16_e64 v142, v25, v142
	v_fma_f16 v149, 0xb93d, v71, v91
	v_mul_f16_e32 v93, 0x3482, v93
	v_add_f16_e32 v27, v19, v124
	v_fmac_f16_e32 v126, 0x3beb, v72
	v_add_f16_e32 v28, v61, v28
	v_add_f16_e32 v30, v25, v30
	v_fma_f16 v61, v71, 0xbbad, -v139
	v_add_f16_e32 v19, v19, v94
	v_fmac_f16_e32 v92, 0xba0c, v72
	v_add_f16_e32 v25, v25, v60
	v_fma_f16 v60, v71, 0xb93d, -v91
	v_add_f16_e64 v140, v148, v140
	v_fma_f16 v148, 0xb482, v75, v95
	v_mul_f16_e32 v97, 0xb08e, v97
	v_add_f16_e64 v142, v149, v142
	v_fma_f16 v149, 0xbbad, v74, v93
	v_mul_f16_e32 v96, 0x3beb, v96
	v_add_f16_e32 v27, v126, v27
	v_fmac_f16_e64 v129, 0xb853, v75
	v_add_f16_e32 v30, v61, v30
	v_fma_f16 v61, v74, 0x36a6, -v143
	v_add_f16_e32 v19, v92, v19
	v_fmac_f16_e32 v95, 0x3482, v75
	v_add_f16_e32 v25, v60, v25
	v_fma_f16 v60, v74, 0xbbad, -v93
	v_add_f16_e64 v140, v148, v140
	v_fma_f16 v148, 0xbbeb, v77, v97
	v_mul_f16_e32 v99, 0x3abb, v99
	v_add_f16_e64 v142, v149, v142
	v_fma_f16 v149, 0xb08e, v76, v96
	v_mul_f16_e32 v98, 0x3853, v98
	v_fmac_f16_e32 v120, 0x3b47, v77
	v_add_f16_e64 v27, v129, v27
	v_fmac_f16_e64 v132, 0xb482, v77
	v_add_f16_e32 v30, v61, v30
	v_fma_f16 v61, v76, 0x3abb, -v145
	v_add_f16_e32 v19, v95, v19
	v_fmac_f16_e32 v97, 0x3beb, v77
	v_add_f16_e32 v25, v60, v25
	v_fma_f16 v60, v76, 0xb08e, -v96
	v_add_f16_e32 v22, v66, v22
	v_add_f16_e64 v101, v148, v140
	v_fma_f16 v140, 0xb853, v79, v99
	v_add_f16_e64 v142, v149, v142
	v_fma_f16 v148, 0x3abb, v78, v98
	v_add_f16_e32 v23, v120, v23
	v_fmac_f16_e32 v122, 0xbbeb, v79
	v_add_f16_e64 v27, v132, v27
	v_fmac_f16_e64 v134, 0x3b47, v79
	v_fmac_f16_e64 v146, 0xba0c, v79
	v_add_f16_e32 v30, v61, v30
	v_fma_f16 v61, v78, 0xb93d, -v147
	v_add_f16_e32 v19, v97, v19
	v_fmac_f16_e32 v99, 0x3853, v79
	v_add_f16_e32 v25, v60, v25
	v_fma_f16 v60, v78, 0x3abb, -v98
	v_add_f16_e32 v21, v64, v21
	v_add_f16_e32 v22, v65, v22
	v_and_b32_e32 v36, 0xffff, v36
	v_add_f16_e64 v101, v140, v101
	v_add_f16_e64 v103, v148, v142
	v_add_f16_e32 v23, v122, v23
	v_add_f16_e64 v27, v134, v27
	v_add_f16_e64 v59, v146, v59
	v_add_f16_e32 v30, v61, v30
	v_add_f16_e32 v19, v99, v19
	;; [unrolled: 1-line block ×3, first 2 shown]
	v_lshl_add_u32 v34, v36, 2, v34
	v_pack_b32_f16 v26, v26, v28
	v_pack_b32_f16 v21, v21, v22
	;; [unrolled: 1-line block ×10, first 2 shown]
	v_perm_b32 v25, v10, v20, 0x5040100
	ds_store_2addr_b32 v34, v21, v26 offset1:1
	ds_store_2addr_b32 v34, v28, v22 offset0:2 offset1:3
	ds_store_2addr_b32 v34, v60, v36 offset0:4 offset1:5
	;; [unrolled: 1-line block ×4, first 2 shown]
	ds_store_b32 v34, v25 offset:40
.LBB0_17:
	s_wait_alu 0xfffe
	s_or_b32 exec_lo, exec_lo, s1
	global_wb scope:SCOPE_SE
	s_wait_dscnt 0x0
	s_barrier_signal -1
	s_barrier_wait -1
	global_inv scope:SCOPE_SE
	ds_load_2addr_b32 v[21:22], v37 offset1:33
	ds_load_2addr_b32 v[23:24], v37 offset0:66 offset1:99
	ds_load_2addr_b32 v[25:26], v37 offset0:132 offset1:165
	;; [unrolled: 1-line block ×3, first 2 shown]
	v_add_nc_u32_e32 v19, 0x400, v37
	ds_load_2addr_b32 v[29:30], v19 offset0:8 offset1:41
	global_wb scope:SCOPE_SE
	s_wait_dscnt 0x0
	s_barrier_signal -1
	s_barrier_wait -1
	global_inv scope:SCOPE_SE
	v_lshrrev_b32_e32 v19, 16, v22
	v_lshrrev_b32_e32 v36, 16, v23
	;; [unrolled: 1-line block ×4, first 2 shown]
	v_mul_f16_e32 v64, v57, v22
	v_mul_f16_e32 v57, v57, v19
	v_lshrrev_b32_e32 v61, 16, v26
	v_lshrrev_b32_e32 v62, 16, v27
	v_mul_f16_e32 v65, v55, v23
	v_mul_f16_e32 v66, v54, v24
	v_fma_f16 v19, v4, v19, -v64
	v_mul_f16_e32 v55, v55, v36
	v_mul_f16_e32 v54, v54, v59
	;; [unrolled: 1-line block ×3, first 2 shown]
	v_fmac_f16_e32 v57, v4, v22
	v_mul_f16_e32 v4, v52, v25
	v_lshrrev_b32_e32 v67, 16, v29
	v_fma_f16 v36, v5, v36, -v65
	v_fmac_f16_e32 v55, v5, v23
	v_fmac_f16_e32 v54, v6, v24
	v_fma_f16 v5, v6, v59, -v66
	v_mul_f16_e32 v6, v50, v61
	v_fmac_f16_e32 v64, v7, v25
	v_fma_f16 v4, v7, v60, -v4
	v_mul_f16_e32 v7, v50, v26
	v_mul_f16_e32 v22, v49, v62
	v_lshrrev_b32_e32 v63, 16, v28
	v_fmac_f16_e32 v6, v0, v26
	v_mul_f16_e32 v26, v46, v67
	v_fma_f16 v0, v0, v61, -v7
	v_fmac_f16_e32 v22, v1, v27
	v_mul_f16_e32 v7, v46, v29
	v_lshrrev_b32_e32 v68, 16, v30
	v_mul_f16_e32 v23, v49, v27
	v_mul_f16_e32 v24, v47, v63
	v_add_f16_e32 v25, v64, v22
	v_fma_f16 v7, v3, v67, -v7
	v_fmac_f16_e32 v26, v3, v29
	v_lshrrev_b32_e32 v34, 16, v21
	v_fma_f16 v1, v1, v62, -v23
	v_fmac_f16_e32 v24, v2, v28
	v_mul_f16_e32 v23, v47, v28
	v_mul_f16_e32 v27, v45, v68
	v_add_f16_e32 v28, v21, v55
	v_fma_f16 v25, -0.5, v25, v21
	v_sub_f16_e32 v46, v36, v7
	v_add_f16_e32 v49, v55, v26
	v_fma_f16 v2, v2, v63, -v23
	v_fmac_f16_e32 v27, v40, v30
	v_add_f16_e32 v3, v28, v64
	v_fmamk_f16 v23, v46, 0xbb9c, v25
	v_sub_f16_e32 v28, v4, v1
	v_mul_f16_e32 v30, v45, v30
	v_fmac_f16_e32 v21, -0.5, v49
	v_fmac_f16_e32 v25, 0x3b9c, v46
	v_add_f16_e32 v49, v34, v36
	v_sub_f16_e32 v29, v55, v64
	v_sub_f16_e32 v47, v26, v22
	v_fmac_f16_e32 v23, 0xb8b4, v28
	v_fma_f16 v30, v40, v68, -v30
	v_fmamk_f16 v40, v28, 0x3b9c, v21
	v_fmac_f16_e32 v25, 0x38b4, v28
	v_fmac_f16_e32 v21, 0xbb9c, v28
	v_add_f16_e32 v28, v49, v4
	v_add_f16_e32 v3, v3, v22
	;; [unrolled: 1-line block ×3, first 2 shown]
	v_sub_f16_e32 v45, v64, v55
	v_sub_f16_e32 v47, v22, v26
	v_add_f16_e32 v50, v4, v1
	v_fmac_f16_e32 v40, 0xb8b4, v46
	v_fmac_f16_e32 v21, 0x38b4, v46
	v_add_f16_e32 v28, v28, v1
	v_add_f16_e32 v46, v36, v7
	;; [unrolled: 1-line block ×4, first 2 shown]
	v_fma_f16 v47, -0.5, v50, v34
	v_sub_f16_e32 v26, v55, v26
	v_sub_f16_e32 v22, v64, v22
	;; [unrolled: 1-line block ×4, first 2 shown]
	v_fmac_f16_e32 v34, -0.5, v46
	v_add_f16_e32 v28, v28, v7
	v_sub_f16_e32 v4, v4, v36
	v_sub_f16_e32 v1, v1, v7
	v_add_f16_e32 v7, v57, v54
	v_fmac_f16_e32 v23, 0x34f2, v29
	v_fmac_f16_e32 v25, 0x34f2, v29
	v_fmamk_f16 v29, v26, 0x3b9c, v47
	v_fmac_f16_e32 v47, 0xbb9c, v26
	v_fmamk_f16 v46, v22, 0xbb9c, v34
	v_add_f16_e32 v1, v4, v1
	v_fmac_f16_e32 v34, 0x3b9c, v22
	v_add_f16_e32 v4, v7, v6
	v_add_f16_e32 v7, v6, v24
	v_fmac_f16_e32 v29, 0x38b4, v22
	v_fmac_f16_e32 v47, 0xb8b4, v22
	;; [unrolled: 1-line block ×4, first 2 shown]
	v_add_f16_e32 v4, v4, v24
	v_add_f16_e32 v22, v54, v27
	v_fma_f16 v7, -0.5, v7, v57
	v_sub_f16_e32 v26, v5, v30
	v_fmac_f16_e32 v40, 0x34f2, v45
	v_fmac_f16_e32 v21, 0x34f2, v45
	v_add_f16_e32 v45, v49, v50
	v_fmac_f16_e32 v46, 0x34f2, v1
	v_fmac_f16_e32 v34, 0x34f2, v1
	v_add_f16_e32 v1, v4, v27
	v_sub_f16_e32 v4, v0, v2
	v_fmac_f16_e32 v57, -0.5, v22
	v_fmamk_f16 v22, v26, 0xbb9c, v7
	v_fmac_f16_e32 v7, 0x3b9c, v26
	v_fmac_f16_e32 v29, 0x34f2, v45
	;; [unrolled: 1-line block ×3, first 2 shown]
	v_sub_f16_e32 v36, v54, v6
	v_sub_f16_e32 v45, v27, v24
	v_fmamk_f16 v49, v4, 0x3b9c, v57
	v_fmac_f16_e32 v57, 0xbb9c, v4
	v_sub_f16_e32 v50, v6, v54
	v_sub_f16_e32 v52, v24, v27
	v_fmac_f16_e32 v22, 0xb8b4, v4
	v_fmac_f16_e32 v7, 0x38b4, v4
	v_add_f16_e32 v4, v0, v2
	v_add_f16_e32 v36, v36, v45
	v_fmac_f16_e32 v49, 0xb8b4, v26
	v_fmac_f16_e32 v57, 0x38b4, v26
	v_add_f16_e32 v26, v5, v30
	v_add_f16_e32 v45, v50, v52
	v_fma_f16 v4, -0.5, v4, v19
	v_sub_f16_e32 v27, v54, v27
	v_fmac_f16_e32 v22, 0x34f2, v36
	v_fmac_f16_e32 v7, 0x34f2, v36
	v_add_f16_e32 v36, v19, v5
	v_sub_f16_e32 v6, v6, v24
	v_fmac_f16_e32 v19, -0.5, v26
	v_fmac_f16_e32 v49, 0x34f2, v45
	v_fmac_f16_e32 v57, 0x34f2, v45
	v_fmamk_f16 v24, v27, 0x3b9c, v4
	v_sub_f16_e32 v26, v5, v0
	v_sub_f16_e32 v45, v30, v2
	v_fmamk_f16 v50, v6, 0xbb9c, v19
	v_sub_f16_e32 v5, v0, v5
	v_sub_f16_e32 v52, v2, v30
	v_fmac_f16_e32 v19, 0x3b9c, v6
	v_fmac_f16_e32 v4, 0xbb9c, v27
	;; [unrolled: 1-line block ×3, first 2 shown]
	v_add_f16_e32 v26, v26, v45
	v_fmac_f16_e32 v50, 0x38b4, v27
	v_add_f16_e32 v5, v5, v52
	v_fmac_f16_e32 v19, 0xb8b4, v27
	v_fmac_f16_e32 v4, 0xb8b4, v6
	v_add_f16_e32 v0, v36, v0
	v_fmac_f16_e32 v24, 0x34f2, v26
	v_fmac_f16_e32 v50, 0x34f2, v5
	;; [unrolled: 1-line block ×4, first 2 shown]
	v_add_f16_e32 v0, v0, v2
	v_mul_f16_e32 v2, 0xb8b4, v24
	v_mul_f16_e32 v24, 0x3a79, v24
	;; [unrolled: 1-line block ×8, first 2 shown]
	v_add_f16_e32 v0, v0, v30
	v_fmac_f16_e32 v2, 0x3a79, v22
	v_fmac_f16_e32 v24, 0x38b4, v22
	;; [unrolled: 1-line block ×8, first 2 shown]
	v_add_f16_e32 v27, v3, v1
	v_add_f16_e32 v30, v23, v2
	;; [unrolled: 1-line block ×10, first 2 shown]
	v_sub_f16_e32 v1, v3, v1
	v_sub_f16_e32 v0, v28, v0
	;; [unrolled: 1-line block ×10, first 2 shown]
	v_pack_b32_f16 v4, v27, v7
	v_pack_b32_f16 v7, v30, v22
	;; [unrolled: 1-line block ×10, first 2 shown]
	ds_store_2addr_b32 v38, v4, v7 offset1:11
	ds_store_2addr_b32 v38, v22, v25 offset0:22 offset1:33
	ds_store_2addr_b32 v38, v26, v0 offset0:44 offset1:55
	;; [unrolled: 1-line block ×4, first 2 shown]
	global_wb scope:SCOPE_SE
	s_wait_dscnt 0x0
	s_barrier_signal -1
	s_barrier_wait -1
	global_inv scope:SCOPE_SE
	ds_load_2addr_b32 v[2:3], v37 offset1:33
	ds_load_2addr_b32 v[0:1], v37 offset0:66 offset1:110
	ds_load_2addr_b32 v[6:7], v37 offset0:220 offset1:253
	ds_load_2addr_b32 v[4:5], v37 offset0:143 offset1:176
	ds_load_b32 v24, v37 offset:1144
	v_add_nc_u32_e32 v23, 0x84, v58
	v_add_nc_u32_e32 v22, 0x108, v58
	s_and_saveexec_b32 s1, s0
	s_cbranch_execz .LBB0_19
; %bb.18:
	ds_load_2addr_b32 v[19:20], v37 offset0:99 offset1:209
	ds_load_b32 v9, v37 offset:1276
	s_wait_dscnt 0x1
	v_lshrrev_b32_e32 v21, 16, v19
	v_lshrrev_b32_e32 v10, 16, v20
	s_wait_dscnt 0x0
	v_lshrrev_b32_e32 v39, 16, v9
.LBB0_19:
	s_wait_alu 0xfffe
	s_or_b32 exec_lo, exec_lo, s1
	s_wait_dscnt 0x3
	v_lshrrev_b32_e32 v26, 16, v1
	s_wait_dscnt 0x2
	v_lshrrev_b32_e32 v27, 16, v6
	;; [unrolled: 2-line block ×3, first 2 shown]
	v_mul_f16_e32 v40, v44, v1
	v_lshrrev_b32_e32 v36, 16, v5
	v_mul_f16_e32 v37, v44, v26
	v_mul_f16_e32 v44, v43, v27
	;; [unrolled: 1-line block ×3, first 2 shown]
	v_lshrrev_b32_e32 v30, 16, v7
	s_wait_dscnt 0x0
	v_lshrrev_b32_e32 v38, 16, v24
	v_fmac_f16_e32 v37, v15, v1
	v_mul_f16_e32 v1, v56, v29
	v_fmac_f16_e32 v44, v16, v6
	v_fma_f16 v6, v16, v27, -v43
	v_mul_f16_e32 v16, v56, v4
	v_mul_f16_e32 v27, v51, v36
	v_fmac_f16_e32 v1, v17, v4
	v_fma_f16 v15, v15, v26, -v40
	v_mul_f16_e32 v4, v53, v30
	v_fma_f16 v16, v17, v29, -v16
	v_mul_f16_e32 v17, v51, v5
	v_mul_f16_e32 v26, v53, v7
	v_fmac_f16_e32 v27, v13, v5
	v_add_f16_e32 v5, v37, v44
	v_lshrrev_b32_e32 v25, 16, v2
	v_fma_f16 v13, v13, v36, -v17
	v_mul_f16_e32 v17, v48, v38
	v_fmac_f16_e32 v4, v18, v7
	v_fma_f16 v7, v18, v30, -v26
	v_mul_f16_e32 v18, v48, v24
	v_add_f16_e32 v26, v2, v37
	v_fma_f16 v2, -0.5, v5, v2
	v_sub_f16_e32 v5, v15, v6
	v_fmac_f16_e32 v17, v14, v24
	v_add_f16_e32 v24, v15, v6
	v_lshrrev_b32_e32 v28, 16, v3
	v_fma_f16 v14, v14, v38, -v18
	v_add_f16_e32 v18, v26, v44
	v_fmamk_f16 v26, v5, 0xbaee, v2
	v_add_f16_e32 v15, v25, v15
	v_fmac_f16_e32 v2, 0x3aee, v5
	v_add_f16_e32 v5, v1, v4
	v_fmac_f16_e32 v25, -0.5, v24
	v_sub_f16_e32 v24, v37, v44
	v_add_f16_e32 v6, v15, v6
	v_add_f16_e32 v15, v3, v1
	v_fmac_f16_e32 v3, -0.5, v5
	v_sub_f16_e32 v5, v16, v7
	v_fmamk_f16 v29, v24, 0x3aee, v25
	v_fmac_f16_e32 v25, 0xbaee, v24
	v_add_f16_e32 v24, v16, v7
	v_add_f16_e32 v16, v28, v16
	v_lshrrev_b32_e32 v34, 16, v0
	v_add_f16_e32 v15, v15, v4
	v_fmamk_f16 v30, v5, 0xbaee, v3
	v_fmac_f16_e32 v3, 0x3aee, v5
	v_add_f16_e32 v5, v27, v17
	v_fmac_f16_e32 v28, -0.5, v24
	v_sub_f16_e32 v1, v1, v4
	v_add_f16_e32 v4, v16, v7
	v_add_f16_e32 v7, v0, v27
	;; [unrolled: 1-line block ×3, first 2 shown]
	v_fmac_f16_e32 v0, -0.5, v5
	v_sub_f16_e32 v5, v13, v14
	v_fmamk_f16 v16, v1, 0x3aee, v28
	v_fmac_f16_e32 v28, 0xbaee, v1
	v_add_f16_e32 v1, v7, v17
	v_add_f16_e32 v13, v34, v13
	v_fmac_f16_e32 v34, -0.5, v24
	v_sub_f16_e32 v17, v27, v17
	v_fmamk_f16 v7, v5, 0xbaee, v0
	v_fmac_f16_e32 v0, 0x3aee, v5
	v_pack_b32_f16 v5, v26, v29
	v_pack_b32_f16 v2, v2, v25
	v_add_f16_e32 v13, v13, v14
	v_fmamk_f16 v14, v17, 0x3aee, v34
	v_fmac_f16_e32 v34, 0xbaee, v17
	v_pack_b32_f16 v6, v18, v6
	ds_store_2addr_b32 v35, v5, v2 offset0:110 offset1:220
	v_pack_b32_f16 v2, v15, v4
	v_pack_b32_f16 v5, v7, v14
	;; [unrolled: 1-line block ×3, first 2 shown]
	v_lshl_add_u32 v0, v33, 2, v32
	v_pack_b32_f16 v4, v30, v16
	v_pack_b32_f16 v3, v3, v28
	;; [unrolled: 1-line block ×3, first 2 shown]
	ds_store_2addr_b32 v35, v6, v2 offset1:33
	ds_store_2addr_b32 v23, v4, v3 offset0:110 offset1:220
	ds_store_b32 v35, v1 offset:264
	ds_store_2addr_b32 v22, v5, v7 offset0:110 offset1:220
	s_and_saveexec_b32 s1, s0
	s_cbranch_execz .LBB0_21
; %bb.20:
	v_mul_f16_e32 v1, v42, v20
	v_mul_f16_e32 v2, v41, v9
	;; [unrolled: 1-line block ×4, first 2 shown]
	s_delay_alu instid0(VALU_DEP_4) | instskip(NEXT) | instid1(VALU_DEP_4)
	v_fma_f16 v1, v11, v10, -v1
	v_fma_f16 v2, v12, v39, -v2
	s_delay_alu instid0(VALU_DEP_4) | instskip(NEXT) | instid1(VALU_DEP_4)
	v_fmac_f16_e32 v3, v11, v20
	v_fmac_f16_e32 v4, v12, v9
	s_delay_alu instid0(VALU_DEP_4) | instskip(NEXT) | instid1(VALU_DEP_4)
	v_add_f16_e32 v9, v21, v1
	v_add_f16_e32 v5, v1, v2
	v_sub_f16_e32 v1, v1, v2
	s_delay_alu instid0(VALU_DEP_4)
	v_add_f16_e32 v7, v3, v4
	v_sub_f16_e32 v6, v3, v4
	v_add_f16_e32 v3, v19, v3
	v_fma_f16 v5, -0.5, v5, v21
	v_add_f16_e32 v2, v9, v2
	v_fma_f16 v7, -0.5, v7, v19
	s_delay_alu instid0(VALU_DEP_4) | instskip(NEXT) | instid1(VALU_DEP_4)
	v_add_f16_e32 v3, v3, v4
	v_fmamk_f16 v4, v6, 0xbaee, v5
	v_fmac_f16_e32 v5, 0x3aee, v6
	s_delay_alu instid0(VALU_DEP_4) | instskip(SKIP_2) | instid1(VALU_DEP_3)
	v_fmamk_f16 v6, v1, 0x3aee, v7
	v_fmac_f16_e32 v7, 0xbaee, v1
	v_pack_b32_f16 v1, v3, v2
	v_pack_b32_f16 v3, v6, v4
	s_delay_alu instid0(VALU_DEP_3)
	v_pack_b32_f16 v2, v7, v5
	ds_store_2addr_b32 v0, v1, v2 offset0:99 offset1:209
	ds_store_b32 v0, v3 offset:1276
.LBB0_21:
	s_wait_alu 0xfffe
	s_or_b32 exec_lo, exec_lo, s1
	global_wb scope:SCOPE_SE
	s_wait_dscnt 0x0
	s_barrier_signal -1
	s_barrier_wait -1
	global_inv scope:SCOPE_SE
	s_and_b32 exec_lo, exec_lo, vcc_lo
	s_cbranch_execz .LBB0_23
; %bb.22:
	s_clause 0x6
	global_load_b32 v1, v32, s[10:11]
	global_load_b32 v2, v32, s[10:11] offset:120
	global_load_b32 v7, v32, s[10:11] offset:240
	;; [unrolled: 1-line block ×6, first 2 shown]
	ds_load_b32 v24, v35
	ds_load_2addr_b32 v[13:14], v0 offset0:30 offset1:60
	ds_load_2addr_b32 v[15:16], v0 offset0:90 offset1:120
	;; [unrolled: 1-line block ×3, first 2 shown]
	v_mad_co_u64_u32 v[11:12], null, s6, v8, 0
	v_mad_co_u64_u32 v[17:18], null, s4, v31, 0
	s_clause 0x3
	global_load_b32 v4, v32, s[10:11] offset:840
	global_load_b32 v3, v32, s[10:11] offset:960
	;; [unrolled: 1-line block ×4, first 2 shown]
	s_mov_b32 s22, 0x8d3018d3
	s_mov_b32 s23, 0x3f68d301
	s_mul_u64 s[20:21], s[4:5], 0x78
	s_wait_dscnt 0x2
	v_mad_co_u64_u32 v[21:22], null, s7, v8, v[12:13]
	v_lshrrev_b32_e32 v8, 16, v24
	s_wait_dscnt 0x0
	v_mad_co_u64_u32 v[22:23], null, s5, v31, v[18:19]
	v_lshrrev_b32_e32 v23, 16, v13
	v_lshrrev_b32_e32 v26, 16, v14
	;; [unrolled: 1-line block ×3, first 2 shown]
	v_mov_b32_e32 v12, v21
	v_lshrrev_b32_e32 v28, 16, v16
	v_lshrrev_b32_e32 v29, 16, v19
	v_mov_b32_e32 v18, v22
	v_lshrrev_b32_e32 v35, 16, v20
	v_lshlrev_b64_e32 v[11:12], 2, v[11:12]
	s_delay_alu instid0(VALU_DEP_3) | instskip(NEXT) | instid1(VALU_DEP_2)
	v_lshlrev_b64_e32 v[17:18], 2, v[17:18]
	v_add_co_u32 v11, vcc_lo, s8, v11
	s_delay_alu instid0(VALU_DEP_3) | instskip(NEXT) | instid1(VALU_DEP_2)
	v_add_co_ci_u32_e32 v12, vcc_lo, s9, v12, vcc_lo
	v_add_co_u32 v11, vcc_lo, v11, v17
	s_wait_alu 0xfffd
	s_delay_alu instid0(VALU_DEP_2) | instskip(NEXT) | instid1(VALU_DEP_2)
	v_add_co_ci_u32_e32 v12, vcc_lo, v12, v18, vcc_lo
	v_add_co_u32 v17, vcc_lo, v11, s20
	s_wait_alu 0xfffd
	s_delay_alu instid0(VALU_DEP_2)
	v_add_co_ci_u32_e32 v18, vcc_lo, s21, v12, vcc_lo
	s_wait_loadcnt 0xa
	v_lshrrev_b32_e32 v21, 16, v1
	s_wait_loadcnt 0x9
	v_lshrrev_b32_e32 v22, 16, v2
	;; [unrolled: 2-line block ×5, first 2 shown]
	v_mul_f16_e32 v30, v8, v21
	v_mul_f16_e32 v21, v24, v21
	v_mul_f16_e32 v37, v13, v22
	v_mul_f16_e32 v38, v26, v31
	s_wait_loadcnt 0x5
	v_lshrrev_b32_e32 v34, 16, v25
	v_fmac_f16_e32 v30, v24, v1
	v_mul_f16_e32 v24, v23, v22
	v_fma_f16 v1, v1, v8, -v21
	v_mul_f16_e32 v8, v14, v31
	v_fmac_f16_e32 v38, v14, v7
	v_cvt_f32_f16_e32 v22, v30
	v_fmac_f16_e32 v24, v13, v2
	v_cvt_f32_f16_e32 v1, v1
	v_fma_f16 v13, v2, v23, -v37
	v_mul_f16_e32 v30, v27, v32
	v_cvt_f64_f32_e32 v[21:22], v22
	v_cvt_f32_f16_e32 v23, v24
	v_cvt_f64_f32_e32 v[1:2], v1
	v_cvt_f32_f16_e32 v24, v13
	v_mul_f16_e32 v31, v15, v32
	v_mul_f16_e32 v32, v28, v33
	v_cvt_f64_f32_e32 v[13:14], v23
	v_fma_f16 v23, v7, v26, -v8
	v_cvt_f32_f16_e32 v26, v38
	v_cvt_f64_f32_e32 v[7:8], v24
	v_fmac_f16_e32 v30, v15, v9
	v_mul_f16_e32 v33, v16, v33
	v_cvt_f32_f16_e32 v15, v23
	v_cvt_f64_f32_e32 v[23:24], v26
	v_mul_f16_e32 v37, v29, v34
	v_fma_f16 v9, v9, v27, -v31
	v_fmac_f16_e32 v32, v16, v10
	v_cvt_f32_f16_e32 v26, v30
	v_cvt_f64_f32_e32 v[15:16], v15
	v_mul_f16_e32 v34, v19, v34
	v_fma_f16 v27, v10, v28, -v33
	v_fmac_f16_e32 v37, v19, v25
	v_cvt_f32_f16_e32 v19, v9
	v_cvt_f64_f32_e32 v[9:10], v26
	v_fma_f16 v28, v25, v29, -v34
	v_cvt_f32_f16_e32 v29, v32
	v_cvt_f32_f16_e32 v30, v27
	v_cvt_f64_f32_e32 v[25:26], v19
	v_cvt_f32_f16_e32 v19, v37
	v_cvt_f32_f16_e32 v33, v28
	v_cvt_f64_f32_e32 v[27:28], v29
	v_cvt_f64_f32_e32 v[29:30], v30
	s_delay_alu instid0(VALU_DEP_4) | instskip(NEXT) | instid1(VALU_DEP_4)
	v_cvt_f64_f32_e32 v[31:32], v19
	v_cvt_f64_f32_e32 v[33:34], v33
	s_wait_loadcnt 0x4
	v_lshrrev_b32_e32 v19, 16, v36
	v_mul_f64_e32 v[21:22], s[22:23], v[21:22]
	v_mul_f64_e32 v[1:2], s[22:23], v[1:2]
	s_delay_alu instid0(VALU_DEP_3) | instskip(SKIP_2) | instid1(VALU_DEP_3)
	v_mul_f16_e32 v37, v35, v19
	v_mul_f16_e32 v19, v20, v19
	v_mul_f64_e32 v[13:14], s[22:23], v[13:14]
	v_fmac_f16_e32 v37, v20, v36
	v_mul_f64_e32 v[7:8], s[22:23], v[7:8]
	s_delay_alu instid0(VALU_DEP_4)
	v_fma_f16 v35, v36, v35, -v19
	v_add_co_u32 v19, vcc_lo, v17, s20
	v_mul_f64_e32 v[23:24], s[22:23], v[23:24]
	s_wait_alu 0xfffd
	v_add_co_ci_u32_e32 v20, vcc_lo, s21, v18, vcc_lo
	v_cvt_f32_f16_e32 v39, v35
	v_add_co_u32 v35, vcc_lo, v19, s20
	v_mul_f64_e32 v[15:16], s[22:23], v[15:16]
	s_wait_alu 0xfffd
	v_add_co_ci_u32_e32 v36, vcc_lo, s21, v20, vcc_lo
	v_cvt_f32_f16_e32 v37, v37
	v_mul_f64_e32 v[9:10], s[22:23], v[9:10]
	v_cvt_f64_f32_e32 v[39:40], v39
	v_mul_f64_e32 v[25:26], s[22:23], v[25:26]
	s_delay_alu instid0(VALU_DEP_4)
	v_cvt_f64_f32_e32 v[37:38], v37
	v_mul_f64_e32 v[27:28], s[22:23], v[27:28]
	v_mul_f64_e32 v[29:30], s[22:23], v[29:30]
	;; [unrolled: 1-line block ×4, first 2 shown]
	v_and_or_b32 v21, 0x1ff, v22, v21
	v_lshrrev_b32_e32 v41, 8, v22
	v_and_or_b32 v1, 0x1ff, v2, v1
	v_bfe_u32 v42, v22, 20, 11
	v_lshrrev_b32_e32 v43, 8, v2
	v_cmp_ne_u32_e32 vcc_lo, 0, v21
	v_and_or_b32 v13, 0x1ff, v14, v13
	v_bfe_u32 v44, v2, 20, 11
	v_lshrrev_b32_e32 v45, 8, v14
	v_and_or_b32 v7, 0x1ff, v8, v7
	s_wait_alu 0xfffd
	v_cndmask_b32_e64 v21, 0, 1, vcc_lo
	v_cmp_ne_u32_e32 vcc_lo, 0, v1
	v_bfe_u32 v46, v14, 20, 11
	v_and_or_b32 v23, 0x1ff, v24, v23
	v_sub_nc_u32_e32 v65, 0x3f1, v42
	v_and_or_b32 v21, 0xffe, v41, v21
	s_wait_alu 0xfffd
	v_cndmask_b32_e64 v1, 0, 1, vcc_lo
	v_cmp_ne_u32_e32 vcc_lo, 0, v13
	v_add_nc_u32_e32 v42, 0xfffffc10, v42
	v_and_or_b32 v15, 0x1ff, v16, v15
	v_lshrrev_b32_e32 v47, 8, v8
	v_and_or_b32 v1, 0xffe, v43, v1
	s_wait_alu 0xfffd
	v_cndmask_b32_e64 v13, 0, 1, vcc_lo
	v_cmp_ne_u32_e32 vcc_lo, 0, v7
	v_and_or_b32 v9, 0x1ff, v10, v9
	v_bfe_u32 v48, v8, 20, 11
	v_bfe_u32 v50, v24, 20, 11
	v_and_or_b32 v25, 0x1ff, v26, v25
	s_wait_alu 0xfffd
	v_cndmask_b32_e64 v7, 0, 1, vcc_lo
	v_cmp_ne_u32_e32 vcc_lo, 0, v23
	v_and_or_b32 v27, 0x1ff, v28, v27
	v_and_or_b32 v29, 0x1ff, v30, v29
	v_sub_nc_u32_e32 v66, 0x3f1, v44
	v_and_or_b32 v31, 0x1ff, v32, v31
	s_wait_alu 0xfffd
	v_cndmask_b32_e64 v23, 0, 1, vcc_lo
	v_cmp_ne_u32_e32 vcc_lo, 0, v15
	v_and_or_b32 v33, 0x1ff, v34, v33
	v_lshrrev_b32_e32 v63, 8, v34
	v_add_nc_u32_e32 v44, 0xfffffc10, v44
	v_sub_nc_u32_e32 v67, 0x3f1, v46
	s_wait_alu 0xfffd
	v_cndmask_b32_e64 v15, 0, 1, vcc_lo
	v_cmp_ne_u32_e32 vcc_lo, 0, v9
	v_med3_i32 v41, v65, 0, 13
	v_and_or_b32 v13, 0xffe, v45, v13
	v_lshl_or_b32 v65, v42, 12, v21
	v_lshrrev_b32_e32 v49, 8, v24
	s_wait_alu 0xfffd
	v_cndmask_b32_e64 v9, 0, 1, vcc_lo
	v_cmp_ne_u32_e32 vcc_lo, 0, v25
	v_bfe_u32 v52, v16, 20, 11
	v_bfe_u32 v54, v10, 20, 11
	v_add_nc_u32_e32 v46, 0xfffffc10, v46
	v_sub_nc_u32_e32 v68, 0x3f1, v48
	s_wait_alu 0xfffd
	v_cndmask_b32_e64 v25, 0, 1, vcc_lo
	v_cmp_ne_u32_e32 vcc_lo, 0, v27
	v_sub_nc_u32_e32 v69, 0x3f1, v50
	v_med3_i32 v43, v66, 0, 13
	v_med3_i32 v45, v67, 0, 13
	v_and_or_b32 v7, 0xffe, v47, v7
	s_wait_alu 0xfffd
	v_cndmask_b32_e64 v27, 0, 1, vcc_lo
	v_cmp_ne_u32_e32 vcc_lo, 0, v29
	v_or_b32_e32 v66, 0x1000, v1
	v_lshl_or_b32 v67, v44, 12, v1
	v_lshrrev_b32_e32 v51, 8, v16
	v_lshrrev_b32_e32 v53, 8, v10
	s_wait_alu 0xfffd
	v_cndmask_b32_e64 v29, 0, 1, vcc_lo
	v_cmp_ne_u32_e32 vcc_lo, 0, v31
	v_bfe_u32 v56, v26, 20, 11
	v_bfe_u32 v58, v28, 20, 11
	v_add_nc_u32_e32 v48, 0xfffffc10, v48
	v_sub_nc_u32_e32 v70, 0x3f1, v52
	s_wait_alu 0xfffd
	v_cndmask_b32_e64 v31, 0, 1, vcc_lo
	v_cmp_ne_u32_e32 vcc_lo, 0, v33
	v_sub_nc_u32_e32 v71, 0x3f1, v54
	v_med3_i32 v47, v68, 0, 13
	v_and_or_b32 v23, 0xffe, v49, v23
	v_med3_i32 v49, v69, 0, 13
	s_wait_alu 0xfffd
	v_cndmask_b32_e64 v33, 0, 1, vcc_lo
	v_cmp_ne_u32_e32 vcc_lo, 0, v21
	v_or_b32_e32 v68, 0x1000, v13
	v_lshl_or_b32 v69, v46, 12, v13
	v_lshrrev_b32_e32 v55, 8, v26
	v_and_or_b32 v33, 0xffe, v63, v33
	v_or_b32_e32 v63, 0x1000, v21
	s_wait_alu 0xfffd
	v_cndmask_b32_e64 v21, 0, 1, vcc_lo
	v_cmp_ne_u32_e32 vcc_lo, 0, v1
	v_lshrrev_b32_e32 v57, 8, v28
	v_bfe_u32 v60, v30, 20, 11
	v_bfe_u32 v62, v32, 20, 11
	v_add_nc_u32_e32 v50, 0xfffffc10, v50
	s_wait_alu 0xfffd
	v_cndmask_b32_e64 v1, 0, 1, vcc_lo
	v_cmp_ne_u32_e32 vcc_lo, 0, v13
	v_sub_nc_u32_e32 v72, 0x3f1, v56
	v_sub_nc_u32_e32 v73, 0x3f1, v58
	v_and_or_b32 v15, 0xffe, v51, v15
	v_med3_i32 v51, v70, 0, 13
	s_wait_alu 0xfffd
	v_cndmask_b32_e64 v13, 0, 1, vcc_lo
	v_cmp_ne_u32_e32 vcc_lo, 0, v7
	v_and_or_b32 v9, 0xffe, v53, v9
	v_med3_i32 v53, v71, 0, 13
	v_or_b32_e32 v70, 0x1000, v7
	v_lshl_or_b32 v71, v48, 12, v7
	s_wait_alu 0xfffd
	v_cndmask_b32_e64 v7, 0, 1, vcc_lo
	v_cmp_ne_u32_e32 vcc_lo, 0, v23
	v_lshrrev_b32_e32 v59, 8, v30
	v_lshrrev_b32_e32 v61, 8, v32
	v_add_nc_u32_e32 v52, 0xfffffc10, v52
	v_sub_nc_u32_e32 v74, 0x3f1, v60
	v_sub_nc_u32_e32 v75, 0x3f1, v62
	v_and_or_b32 v25, 0xffe, v55, v25
	v_med3_i32 v55, v72, 0, 13
	v_and_or_b32 v27, 0xffe, v57, v27
	v_med3_i32 v57, v73, 0, 13
	v_or_b32_e32 v72, 0x1000, v23
	v_lshl_or_b32 v73, v50, 12, v23
	s_wait_alu 0xfffd
	v_cndmask_b32_e64 v23, 0, 1, vcc_lo
	v_cmp_ne_u32_e32 vcc_lo, 0, v15
	v_add_nc_u32_e32 v54, 0xfffffc10, v54
	v_and_or_b32 v29, 0xffe, v59, v29
	v_med3_i32 v59, v74, 0, 13
	v_and_or_b32 v31, 0xffe, v61, v31
	v_med3_i32 v61, v75, 0, 13
	v_or_b32_e32 v74, 0x1000, v15
	v_lshl_or_b32 v75, v52, 12, v15
	s_wait_alu 0xfffd
	v_cndmask_b32_e64 v15, 0, 1, vcc_lo
	v_cmp_ne_u32_e32 vcc_lo, 0, v9
	v_add_nc_u32_e32 v56, 0xfffffc10, v56
	v_or_b32_e32 v77, 0x1000, v9
	v_lshl_or_b32 v78, v54, 12, v9
	v_add_nc_u32_e32 v58, 0xfffffc10, v58
	s_wait_alu 0xfffd
	v_cndmask_b32_e64 v9, 0, 1, vcc_lo
	v_cmp_ne_u32_e32 vcc_lo, 0, v25
	v_or_b32_e32 v79, 0x1000, v25
	v_lshl_or_b32 v80, v56, 12, v25
	v_lshrrev_b32_e32 v87, v41, v63
	v_add_nc_u32_e32 v60, 0xfffffc10, v60
	s_wait_alu 0xfffd
	v_cndmask_b32_e64 v25, 0, 1, vcc_lo
	v_cmp_ne_u32_e32 vcc_lo, 0, v27
	v_or_b32_e32 v81, 0x1000, v27
	v_lshl_or_b32 v82, v58, 12, v27
	v_lshrrev_b32_e32 v88, v43, v66
	v_lshlrev_b32_e32 v41, v41, v87
	s_wait_alu 0xfffd
	v_cndmask_b32_e64 v27, 0, 1, vcc_lo
	v_cmp_ne_u32_e32 vcc_lo, 0, v29
	v_or_b32_e32 v83, 0x1000, v29
	v_lshl_or_b32 v84, v60, 12, v29
	v_lshrrev_b32_e32 v89, v45, v68
	v_lshlrev_b32_e32 v43, v43, v88
	s_wait_alu 0xfffd
	v_cndmask_b32_e64 v29, 0, 1, vcc_lo
	v_cmp_ne_u32_e32 vcc_lo, v41, v63
	v_lshrrev_b32_e32 v90, v47, v70
	v_lshlrev_b32_e32 v45, v45, v89
	v_lshrrev_b32_e32 v91, v49, v72
	v_lshl_or_b32 v27, v27, 9, 0x7c00
	s_wait_alu 0xfffd
	v_cndmask_b32_e64 v41, 0, 1, vcc_lo
	v_cmp_ne_u32_e32 vcc_lo, v43, v66
	v_lshlrev_b32_e32 v47, v47, v90
	v_lshrrev_b32_e32 v92, v51, v74
	v_lshlrev_b32_e32 v49, v49, v91
	v_lshrrev_b32_e32 v93, v53, v77
	s_wait_alu 0xfffd
	v_cndmask_b32_e64 v43, 0, 1, vcc_lo
	v_cmp_ne_u32_e32 vcc_lo, v45, v68
	v_lshlrev_b32_e32 v51, v51, v92
	v_lshrrev_b32_e32 v94, v55, v79
	v_lshlrev_b32_e32 v53, v53, v93
	v_lshrrev_b32_e32 v95, v57, v81
	s_wait_alu 0xfffd
	v_cndmask_b32_e64 v45, 0, 1, vcc_lo
	v_cmp_ne_u32_e32 vcc_lo, v47, v70
	v_lshlrev_b32_e32 v55, v55, v94
	v_or_b32_e32 v85, 0x1000, v31
	v_lshrrev_b32_e32 v96, v59, v83
	v_lshlrev_b32_e32 v57, v57, v95
	s_wait_alu 0xfffd
	v_cndmask_b32_e64 v47, 0, 1, vcc_lo
	v_cmp_ne_u32_e32 vcc_lo, v49, v72
	v_lshrrev_b32_e32 v97, v61, v85
	v_lshlrev_b32_e32 v59, v59, v96
	v_or_b32_e32 v41, v87, v41
	v_or_b32_e32 v43, v88, v43
	s_wait_alu 0xfffd
	v_cndmask_b32_e64 v49, 0, 1, vcc_lo
	v_cmp_ne_u32_e32 vcc_lo, v51, v74
	v_lshlrev_b32_e32 v61, v61, v97
	v_or_b32_e32 v45, v89, v45
	v_or_b32_e32 v47, v90, v47
	;; [unrolled: 1-line block ×3, first 2 shown]
	s_wait_alu 0xfffd
	v_cndmask_b32_e64 v51, 0, 1, vcc_lo
	v_cmp_ne_u32_e32 vcc_lo, v53, v77
	v_lshl_or_b32 v21, v21, 9, 0x7c00
	v_lshl_or_b32 v1, v1, 9, 0x7c00
	;; [unrolled: 1-line block ×3, first 2 shown]
	v_or_b32_e32 v51, v92, v51
	s_wait_alu 0xfffd
	v_cndmask_b32_e64 v53, 0, 1, vcc_lo
	v_cmp_ne_u32_e32 vcc_lo, v55, v79
	v_lshrrev_b32_e32 v22, 16, v22
	v_lshl_or_b32 v7, v7, 9, 0x7c00
	v_lshl_or_b32 v23, v23, 9, 0x7c00
	v_or_b32_e32 v53, v93, v53
	s_wait_alu 0xfffd
	v_cndmask_b32_e64 v55, 0, 1, vcc_lo
	v_cmp_ne_u32_e32 vcc_lo, v57, v81
	v_lshl_or_b32 v15, v15, 9, 0x7c00
	v_lshl_or_b32 v9, v9, 9, 0x7c00
	v_lshrrev_b32_e32 v8, 16, v8
	v_or_b32_e32 v55, v94, v55
	s_wait_alu 0xfffd
	v_cndmask_b32_e64 v57, 0, 1, vcc_lo
	v_cmp_ne_u32_e32 vcc_lo, v59, v83
	v_lshrrev_b32_e32 v24, 16, v24
	v_lshrrev_b32_e32 v10, 16, v10
	;; [unrolled: 1-line block ×3, first 2 shown]
	v_or_b32_e32 v57, v95, v57
	s_wait_alu 0xfffd
	v_cndmask_b32_e64 v59, 0, 1, vcc_lo
	v_cmp_ne_u32_e32 vcc_lo, v61, v85
	v_lshrrev_b32_e32 v14, 16, v14
	v_lshl_or_b32 v25, v25, 9, 0x7c00
	v_lshrrev_b32_e32 v16, 16, v16
	v_or_b32_e32 v59, v96, v59
	s_wait_alu 0xfffd
	v_cndmask_b32_e64 v61, 0, 1, vcc_lo
	v_cmp_gt_i32_e32 vcc_lo, 1, v42
	v_bfe_u32 v64, v34, 20, 11
	v_lshrrev_b32_e32 v26, 16, v26
	v_lshrrev_b32_e32 v28, 16, v28
	v_or_b32_e32 v61, v97, v61
	s_wait_alu 0xfffd
	v_cndmask_b32_e32 v41, v65, v41, vcc_lo
	v_cmp_gt_i32_e32 vcc_lo, 1, v44
	v_sub_nc_u32_e32 v76, 0x3f1, v64
	s_delay_alu instid0(VALU_DEP_3)
	v_and_b32_e32 v63, 7, v41
	s_wait_alu 0xfffd
	v_cndmask_b32_e32 v43, v67, v43, vcc_lo
	v_cmp_gt_i32_e32 vcc_lo, 1, v46
	v_lshrrev_b32_e32 v41, 2, v41
	v_cmp_eq_u32_e64 s0, 3, v63
	s_delay_alu instid0(VALU_DEP_4)
	v_and_b32_e32 v65, 7, v43
	s_wait_alu 0xfffd
	v_cndmask_b32_e32 v45, v69, v45, vcc_lo
	v_cmp_gt_i32_e32 vcc_lo, 1, v48
	v_lshrrev_b32_e32 v43, 2, v43
	v_cmp_lt_i32_e64 s1, 5, v65
	v_cmp_eq_u32_e64 s2, 3, v65
	s_wait_alu 0xfffd
	v_cndmask_b32_e32 v47, v71, v47, vcc_lo
	v_cmp_gt_i32_e32 vcc_lo, 1, v50
	s_delay_alu instid0(VALU_DEP_2)
	v_and_b32_e32 v67, 7, v47
	s_wait_alu 0xfffd
	v_cndmask_b32_e32 v49, v73, v49, vcc_lo
	v_cmp_gt_i32_e32 vcc_lo, 1, v52
	v_lshrrev_b32_e32 v47, 2, v47
	v_cmp_lt_i32_e64 s5, 5, v67
	v_cmp_eq_u32_e64 s6, 3, v67
	s_wait_alu 0xfffd
	v_cndmask_b32_e32 v51, v75, v51, vcc_lo
	v_cmp_gt_i32_e32 vcc_lo, 1, v54
	s_delay_alu instid0(VALU_DEP_2)
	;; [unrolled: 11-line block ×3, first 2 shown]
	v_and_b32_e32 v71, 7, v55
	s_wait_alu 0xfffd
	v_cndmask_b32_e32 v57, v82, v57, vcc_lo
	v_cmp_gt_i32_e32 vcc_lo, 1, v60
	v_lshrrev_b32_e32 v55, 2, v55
	v_cmp_lt_i32_e64 s13, 5, v71
	v_cmp_eq_u32_e64 s14, 3, v71
	s_wait_alu 0xfffd
	v_cndmask_b32_e32 v59, v84, v59, vcc_lo
	v_cmp_lt_i32_e32 vcc_lo, 5, v63
	s_delay_alu instid0(VALU_DEP_2)
	v_and_b32_e32 v73, 7, v59
	s_or_b32 vcc_lo, s0, vcc_lo
	v_lshrrev_b32_e32 v59, 2, v59
	s_wait_alu 0xfffe
	v_add_co_ci_u32_e32 v41, vcc_lo, 0, v41, vcc_lo
	s_or_b32 vcc_lo, s2, s1
	v_cmp_lt_i32_e64 s17, 5, v73
	s_wait_alu 0xfffe
	v_add_co_ci_u32_e32 v43, vcc_lo, 0, v43, vcc_lo
	v_and_b32_e32 v66, 7, v45
	v_lshrrev_b32_e32 v45, 2, v45
	v_cmp_eq_u32_e64 s18, 3, v73
	s_delay_alu instid0(VALU_DEP_3) | instskip(SKIP_1) | instid1(VALU_DEP_1)
	v_cmp_lt_i32_e64 s3, 5, v66
	v_cmp_eq_u32_e64 s4, 3, v66
	s_or_b32 vcc_lo, s4, s3
	s_wait_alu 0xfffe
	v_add_co_ci_u32_e32 v45, vcc_lo, 0, v45, vcc_lo
	s_or_b32 vcc_lo, s6, s5
	s_wait_alu 0xfffe
	v_add_co_ci_u32_e32 v47, vcc_lo, 0, v47, vcc_lo
	v_and_b32_e32 v68, 7, v49
	v_lshrrev_b32_e32 v49, 2, v49
	s_delay_alu instid0(VALU_DEP_2) | instskip(SKIP_1) | instid1(VALU_DEP_1)
	v_cmp_lt_i32_e64 s7, 5, v68
	v_cmp_eq_u32_e64 s8, 3, v68
	s_or_b32 vcc_lo, s8, s7
	s_wait_alu 0xfffe
	v_add_co_ci_u32_e32 v49, vcc_lo, 0, v49, vcc_lo
	s_or_b32 vcc_lo, s10, s9
	s_wait_alu 0xfffe
	v_add_co_ci_u32_e32 v51, vcc_lo, 0, v51, vcc_lo
	v_and_b32_e32 v70, 7, v53
	v_lshrrev_b32_e32 v53, 2, v53
	s_delay_alu instid0(VALU_DEP_2) | instskip(SKIP_1) | instid1(VALU_DEP_1)
	;; [unrolled: 11-line block ×3, first 2 shown]
	v_cmp_lt_i32_e64 s15, 5, v72
	v_cmp_eq_u32_e64 s16, 3, v72
	s_or_b32 vcc_lo, s16, s15
	s_wait_alu 0xfffe
	v_add_co_ci_u32_e32 v57, vcc_lo, 0, v57, vcc_lo
	s_or_b32 vcc_lo, s18, s17
	s_wait_alu 0xfffe
	v_add_co_ci_u32_e32 v59, vcc_lo, 0, v59, vcc_lo
	v_cmp_gt_i32_e32 vcc_lo, 31, v42
	s_wait_alu 0xfffd
	v_cndmask_b32_e32 v41, 0x7c00, v41, vcc_lo
	v_cmp_gt_i32_e32 vcc_lo, 31, v44
	s_wait_alu 0xfffd
	v_cndmask_b32_e32 v43, 0x7c00, v43, vcc_lo
	;; [unrolled: 3-line block ×10, first 2 shown]
	v_cmp_eq_u32_e32 vcc_lo, 0x40f, v42
	s_wait_alu 0xfffd
	v_dual_cndmask_b32 v21, v41, v21 :: v_dual_add_nc_u32 v62, 0xfffffc10, v62
	v_cmp_eq_u32_e32 vcc_lo, 0x40f, v44
	s_delay_alu instid0(VALU_DEP_2) | instskip(NEXT) | instid1(VALU_DEP_3)
	v_lshl_or_b32 v86, v62, 12, v31
	v_and_or_b32 v21, 0x8000, v22, v21
	s_wait_alu 0xfffd
	v_cndmask_b32_e32 v1, v43, v1, vcc_lo
	v_cmp_eq_u32_e32 vcc_lo, 0x40f, v46
	v_lshrrev_b32_e32 v22, 16, v32
	s_delay_alu instid0(VALU_DEP_3)
	v_and_or_b32 v1, 0x8000, v2, v1
	s_wait_alu 0xfffd
	v_cndmask_b32_e32 v13, v45, v13, vcc_lo
	v_cmp_eq_u32_e32 vcc_lo, 0x40f, v48
	s_wait_alu 0xfffd
	v_cndmask_b32_e32 v7, v47, v7, vcc_lo
	v_cmp_eq_u32_e32 vcc_lo, 0x40f, v50
	;; [unrolled: 3-line block ×5, first 2 shown]
	s_delay_alu instid0(VALU_DEP_2)
	v_and_or_b32 v9, 0x8000, v10, v9
	v_and_b32_e32 v10, 0xffff, v21
	v_and_or_b32 v7, 0x8000, v8, v7
	v_and_or_b32 v8, 0x8000, v24, v23
	s_wait_alu 0xfffd
	v_cndmask_b32_e32 v25, v55, v25, vcc_lo
	v_cmp_eq_u32_e32 vcc_lo, 0x40f, v58
	v_lshl_or_b32 v1, v1, 16, v10
	v_and_b32_e32 v9, 0xffff, v9
	v_and_b32_e32 v8, 0xffff, v8
	v_and_or_b32 v2, 0x8000, v14, v13
	v_and_or_b32 v13, 0x8000, v16, v15
	s_wait_alu 0xfffd
	v_cndmask_b32_e32 v10, v57, v27, vcc_lo
	v_cmp_gt_i32_e32 vcc_lo, 1, v62
	v_and_or_b32 v14, 0x8000, v26, v25
	v_and_b32_e32 v2, 0xffff, v2
	v_lshrrev_b32_e32 v15, 16, v30
	s_delay_alu instid0(VALU_DEP_3) | instskip(NEXT) | instid1(VALU_DEP_3)
	v_lshl_or_b32 v9, v14, 16, v9
	v_lshl_or_b32 v2, v7, 16, v2
	;; [unrolled: 1-line block ×3, first 2 shown]
	s_clause 0x2
	global_store_b32 v[11:12], v1, off
	global_store_b32 v[17:18], v2, off
	global_store_b32 v[19:20], v7, off
	v_lshl_or_b32 v7, v29, 9, 0x7c00
	s_wait_alu 0xfffd
	v_cndmask_b32_e32 v11, v86, v61, vcc_lo
	v_or_b32_e32 v12, 0x1000, v33
	v_med3_i32 v13, v76, 0, 13
	v_cmp_eq_u32_e32 vcc_lo, 0x40f, v60
	v_mul_f64_e32 v[1:2], s[22:23], v[37:38]
	v_and_b32_e32 v17, 7, v11
	global_store_b32 v[35:36], v9, off
	v_lshrrev_b32_e32 v16, v13, v12
	s_wait_alu 0xfffd
	v_cndmask_b32_e32 v14, v59, v7, vcc_lo
	ds_load_2addr_b32 v[7:8], v0 offset0:210 offset1:240
	v_cmp_lt_i32_e32 vcc_lo, 5, v17
	v_cmp_eq_u32_e64 s0, 3, v17
	v_lshlrev_b32_e32 v9, v13, v16
	v_lshrrev_b32_e32 v11, 2, v11
	v_add_nc_u32_e32 v13, 0xfffffc10, v64
	v_and_or_b32 v15, 0x8000, v15, v14
	s_or_b32 vcc_lo, s0, vcc_lo
	v_cmp_ne_u32_e64 s1, v9, v12
	s_wait_alu 0xfffe
	v_add_co_ci_u32_e32 v11, vcc_lo, 0, v11, vcc_lo
	v_cmp_ne_u32_e32 vcc_lo, 0, v31
	v_lshl_or_b32 v14, v13, 12, v33
	s_wait_alu 0xf1ff
	v_cndmask_b32_e64 v12, 0, 1, s1
	s_wait_loadcnt 0x3
	v_lshrrev_b32_e32 v19, 16, v4
	v_and_or_b32 v18, 0x8000, v28, v10
	v_mul_f64_e32 v[9:10], s[22:23], v[39:40]
	v_add_nc_u32_e32 v0, 0x400, v0
	v_or_b32_e32 v12, v16, v12
	s_wait_alu 0xfffd
	v_cndmask_b32_e64 v16, 0, 1, vcc_lo
	s_wait_dscnt 0x0
	v_lshrrev_b32_e32 v17, 16, v7
	v_cmp_gt_i32_e32 vcc_lo, 1, v13
	v_and_b32_e32 v18, 0xffff, v18
	s_wait_alu 0xfffd
	v_cndmask_b32_e32 v14, v14, v12, vcc_lo
	v_cmp_gt_i32_e32 vcc_lo, 31, v62
	v_lshl_or_b32 v12, v16, 9, 0x7c00
	v_mul_f16_e32 v16, v17, v19
	s_wait_alu 0xfffd
	v_dual_cndmask_b32 v11, 0x7c00, v11 :: v_dual_and_b32 v20, 7, v14
	v_cmp_eq_u32_e32 vcc_lo, 0x40f, v62
	s_delay_alu instid0(VALU_DEP_3) | instskip(SKIP_1) | instid1(VALU_DEP_4)
	v_fmac_f16_e32 v16, v7, v4
	v_and_or_b32 v1, 0x1ff, v2, v1
	v_cmp_eq_u32_e64 s0, 3, v20
	v_lshrrev_b32_e32 v14, 2, v14
	s_wait_alu 0xfffd
	v_cndmask_b32_e32 v21, v11, v12, vcc_lo
	v_cvt_f32_f16_e32 v11, v16
	v_cmp_ne_u32_e64 s1, 0, v1
	v_cmp_lt_i32_e32 vcc_lo, 5, v20
	v_lshrrev_b32_e32 v16, 8, v2
	v_bfe_u32 v20, v2, 20, 11
	v_cvt_f64_f32_e32 v[11:12], v11
	s_wait_alu 0xf1ff
	v_cndmask_b32_e64 v1, 0, 1, s1
	s_or_b32 vcc_lo, s0, vcc_lo
	v_and_or_b32 v21, 0x8000, v22, v21
	s_wait_alu 0xfffe
	v_add_co_ci_u32_e32 v14, vcc_lo, 0, v14, vcc_lo
	v_and_or_b32 v1, 0xffe, v16, v1
	v_sub_nc_u32_e32 v16, 0x3f1, v20
	v_cmp_gt_i32_e32 vcc_lo, 31, v13
	v_mul_f16_e32 v7, v7, v19
	v_and_or_b32 v9, 0x1ff, v10, v9
	v_or_b32_e32 v22, 0x1000, v1
	v_med3_i32 v16, v16, 0, 13
	s_wait_alu 0xfffd
	v_cndmask_b32_e32 v14, 0x7c00, v14, vcc_lo
	v_cmp_ne_u32_e32 vcc_lo, 0, v33
	v_fma_f16 v4, v4, v17, -v7
	v_lshrrev_b32_e32 v25, 8, v10
	v_lshrrev_b32_e32 v24, v16, v22
	v_bfe_u32 v19, v10, 20, 11
	s_wait_alu 0xfffd
	v_cndmask_b32_e64 v23, 0, 1, vcc_lo
	v_cmp_ne_u32_e32 vcc_lo, 0, v9
	v_cvt_f32_f16_e32 v4, v4
	v_lshlrev_b32_e32 v16, v16, v24
	v_sub_nc_u32_e32 v7, 0x3f1, v19
	v_lshl_or_b32 v23, v23, 9, 0x7c00
	s_wait_alu 0xfffd
	v_cndmask_b32_e64 v9, 0, 1, vcc_lo
	v_add_nc_u32_e32 v20, 0xfffffc10, v20
	v_cmp_ne_u32_e32 vcc_lo, v16, v22
	v_med3_i32 v7, v7, 0, 13
	v_add_nc_u32_e32 v19, 0xfffffc10, v19
	v_and_or_b32 v9, 0xffe, v25, v9
	v_lshl_or_b32 v25, v15, 16, v18
	s_wait_alu 0xfffd
	v_cndmask_b32_e64 v16, 0, 1, vcc_lo
	v_cmp_eq_u32_e32 vcc_lo, 0x40f, v13
	v_cmp_gt_i32_e64 s1, 1, v19
	v_or_b32_e32 v17, 0x1000, v9
	v_and_b32_e32 v21, 0xffff, v21
	v_mul_f64_e32 v[11:12], s[22:23], v[11:12]
	s_wait_alu 0xfffd
	v_cndmask_b32_e32 v22, v14, v23, vcc_lo
	v_cvt_f64_f32_e32 v[13:14], v4
	v_lshrrev_b32_e32 v23, v7, v17
	v_or_b32_e32 v4, v24, v16
	v_lshl_or_b32 v16, v20, 12, v1
	v_cmp_gt_i32_e32 vcc_lo, 1, v20
	v_lshrrev_b32_e32 v24, 16, v34
	s_wait_alu 0xfffd
	s_delay_alu instid0(VALU_DEP_3) | instskip(NEXT) | instid1(VALU_DEP_2)
	v_dual_cndmask_b32 v4, v16, v4 :: v_dual_lshlrev_b32 v7, v7, v23
	v_and_or_b32 v18, 0x8000, v24, v22
	s_delay_alu instid0(VALU_DEP_2)
	v_cmp_ne_u32_e32 vcc_lo, v7, v17
	v_lshl_or_b32 v17, v19, 12, v9
	s_wait_loadcnt 0x2
	v_lshrrev_b32_e32 v24, 16, v3
	v_and_b32_e32 v22, 7, v4
	v_lshrrev_b32_e32 v4, 2, v4
	s_wait_alu 0xfffd
	v_cndmask_b32_e64 v7, 0, 1, vcc_lo
	v_add_co_u32 v15, vcc_lo, v35, s20
	s_wait_alu 0xfffd
	v_add_co_ci_u32_e32 v16, vcc_lo, s21, v36, vcc_lo
	s_delay_alu instid0(VALU_DEP_3)
	v_or_b32_e32 v7, v23, v7
	v_lshrrev_b32_e32 v23, 16, v8
	v_cmp_lt_i32_e32 vcc_lo, 5, v22
	v_cmp_eq_u32_e64 s0, 3, v22
	v_lshl_or_b32 v21, v18, 16, v21
	s_wait_alu 0xf1ff
	v_cndmask_b32_e64 v7, v17, v7, s1
	v_mul_f16_e32 v17, v23, v24
	s_or_b32 vcc_lo, s0, vcc_lo
	s_wait_alu 0xfffe
	v_add_co_ci_u32_e32 v4, vcc_lo, 0, v4, vcc_lo
	v_cmp_ne_u32_e32 vcc_lo, 0, v1
	v_fmac_f16_e32 v17, v8, v3
	v_and_b32_e32 v18, 7, v7
	v_and_or_b32 v11, 0x1ff, v12, v11
	v_lshrrev_b32_e32 v22, 8, v12
	v_mul_f64_e32 v[13:14], s[22:23], v[13:14]
	s_wait_alu 0xfffd
	v_cndmask_b32_e64 v1, 0, 1, vcc_lo
	v_cmp_gt_i32_e32 vcc_lo, 31, v20
	v_cmp_ne_u32_e64 s1, 0, v11
	v_cvt_f32_f16_e32 v17, v17
	v_cmp_eq_u32_e64 s0, 3, v18
	v_lshl_or_b32 v1, v1, 9, 0x7c00
	s_wait_alu 0xfffd
	v_cndmask_b32_e32 v4, 0x7c00, v4, vcc_lo
	s_wait_alu 0xf1ff
	v_cndmask_b32_e64 v11, 0, 1, s1
	v_cmp_eq_u32_e64 s1, 0x40f, v20
	v_cmp_lt_i32_e32 vcc_lo, 5, v18
	v_cvt_f64_f32_e32 v[17:18], v17
	v_bfe_u32 v26, v12, 20, 11
	v_and_or_b32 v11, 0xffe, v22, v11
	s_wait_alu 0xf1ff
	v_cndmask_b32_e64 v4, v4, v1, s1
	v_lshrrev_b32_e32 v1, 2, v7
	s_or_b32 vcc_lo, s0, vcc_lo
	v_sub_nc_u32_e32 v7, 0x3f1, v26
	v_or_b32_e32 v20, 0x1000, v11
	v_lshrrev_b32_e32 v22, 16, v2
	s_wait_alu 0xfffe
	v_add_co_ci_u32_e32 v1, vcc_lo, 0, v1, vcc_lo
	v_cmp_ne_u32_e32 vcc_lo, 0, v9
	v_med3_i32 v7, v7, 0, 13
	v_and_or_b32 v22, 0x8000, v22, v4
	v_lshrrev_b32_e32 v12, 16, v12
	s_wait_alu 0xfffd
	v_cndmask_b32_e64 v9, 0, 1, vcc_lo
	v_cmp_gt_i32_e32 vcc_lo, 31, v19
	v_lshrrev_b32_e32 v28, v7, v20
	s_delay_alu instid0(VALU_DEP_3)
	v_lshl_or_b32 v9, v9, 9, 0x7c00
	s_wait_alu 0xfffd
	v_cndmask_b32_e32 v27, 0x7c00, v1, vcc_lo
	v_add_co_u32 v1, vcc_lo, v15, s20
	s_wait_alu 0xfffd
	v_add_co_ci_u32_e32 v2, vcc_lo, s21, v16, vcc_lo
	v_lshlrev_b32_e32 v4, v7, v28
	v_cmp_eq_u32_e32 vcc_lo, 0x40f, v19
	v_and_or_b32 v7, 0x1ff, v14, v13
	v_lshrrev_b32_e32 v13, 16, v10
	s_wait_alu 0xfffd
	v_cndmask_b32_e32 v19, v27, v9, vcc_lo
	v_cmp_ne_u32_e32 vcc_lo, v4, v20
	v_mul_f16_e32 v4, v8, v24
	v_lshrrev_b32_e32 v20, 8, v14
	v_bfe_u32 v24, v14, 20, 11
	v_and_or_b32 v13, 0x8000, v13, v19
	s_wait_alu 0xfffd
	v_cndmask_b32_e64 v9, 0, 1, vcc_lo
	v_cmp_ne_u32_e32 vcc_lo, 0, v7
	v_mul_f64_e32 v[7:8], s[22:23], v[17:18]
	v_fma_f16 v3, v3, v23, -v4
	v_add_nc_u32_e32 v17, 0xfffffc10, v26
	v_and_b32_e32 v19, 0xffff, v22
	s_wait_alu 0xfffd
	v_cndmask_b32_e64 v10, 0, 1, vcc_lo
	v_lshrrev_b32_e32 v14, 16, v14
	v_lshl_or_b32 v23, v17, 12, v11
	v_cmp_gt_i32_e32 vcc_lo, 1, v17
	s_delay_alu instid0(VALU_DEP_4)
	v_and_or_b32 v18, 0xffe, v20, v10
	v_sub_nc_u32_e32 v10, 0x3f1, v24
	v_cvt_f32_f16_e32 v20, v3
	ds_load_2addr_b32 v[3:4], v0 offset0:14 offset1:44
	v_or_b32_e32 v0, v28, v9
	v_or_b32_e32 v26, 0x1000, v18
	v_med3_i32 v27, v10, 0, 13
	v_cvt_f64_f32_e32 v[9:10], v20
	global_store_b32 v[15:16], v25, off
	global_store_b32 v[1:2], v21, off
	s_wait_alu 0xfffd
	v_cndmask_b32_e32 v20, v23, v0, vcc_lo
	v_lshl_or_b32 v19, v13, 16, v19
	v_lshrrev_b32_e32 v22, v27, v26
	v_add_co_u32 v0, vcc_lo, v1, s20
	s_delay_alu instid0(VALU_DEP_4)
	v_and_b32_e32 v13, 7, v20
	s_wait_alu 0xfffd
	v_add_co_ci_u32_e32 v1, vcc_lo, s21, v2, vcc_lo
	v_lshlrev_b32_e32 v15, v27, v22
	s_wait_loadcnt 0x1
	v_lshrrev_b32_e32 v2, 16, v5
	v_cmp_lt_i32_e32 vcc_lo, 5, v13
	v_add_nc_u32_e32 v23, 0xfffffc10, v24
	v_cmp_eq_u32_e64 s1, 0x40f, v17
	v_cmp_ne_u32_e64 s0, v15, v26
	s_wait_dscnt 0x0
	v_lshrrev_b32_e32 v21, 16, v3
	s_wait_alu 0xf1ff
	s_delay_alu instid0(VALU_DEP_2)
	v_cndmask_b32_e64 v15, 0, 1, s0
	v_cmp_eq_u32_e64 s0, 3, v13
	v_lshrrev_b32_e32 v13, 2, v20
	v_mul_f16_e32 v16, v21, v2
	v_lshl_or_b32 v20, v23, 12, v18
	v_or_b32_e32 v15, v22, v15
	s_or_b32 vcc_lo, s0, vcc_lo
	v_and_or_b32 v7, 0x1ff, v8, v7
	s_wait_alu 0xfffe
	v_add_co_ci_u32_e32 v13, vcc_lo, 0, v13, vcc_lo
	v_cmp_gt_i32_e32 vcc_lo, 1, v23
	v_fmac_f16_e32 v16, v3, v5
	v_lshrrev_b32_e32 v22, 8, v8
	v_bfe_u32 v24, v8, 20, 11
	s_wait_alu 0xfffd
	v_cndmask_b32_e32 v20, v20, v15, vcc_lo
	v_cmp_ne_u32_e32 vcc_lo, 0, v7
	v_cvt_f32_f16_e32 v16, v16
	v_mul_f64_e32 v[9:10], s[22:23], v[9:10]
	s_delay_alu instid0(VALU_DEP_4)
	v_and_b32_e32 v25, 7, v20
	s_wait_alu 0xfffd
	v_cndmask_b32_e64 v7, 0, 1, vcc_lo
	v_cmp_ne_u32_e32 vcc_lo, 0, v11
	v_cvt_f64_f32_e32 v[15:16], v16
	v_lshrrev_b32_e32 v20, 2, v20
	v_cmp_eq_u32_e64 s0, 3, v25
	v_and_or_b32 v7, 0xffe, v22, v7
	s_wait_alu 0xfffd
	v_cndmask_b32_e64 v11, 0, 1, vcc_lo
	v_cmp_gt_i32_e32 vcc_lo, 31, v17
	v_sub_nc_u32_e32 v22, 0x3f1, v24
	v_add_nc_u32_e32 v24, 0xfffffc10, v24
	v_or_b32_e32 v26, 0x1000, v7
	v_lshl_or_b32 v11, v11, 9, 0x7c00
	s_wait_alu 0xfffd
	v_cndmask_b32_e32 v13, 0x7c00, v13, vcc_lo
	v_cmp_lt_i32_e32 vcc_lo, 5, v25
	v_med3_i32 v22, v22, 0, 13
	s_delay_alu instid0(VALU_DEP_3) | instskip(SKIP_1) | instid1(VALU_DEP_2)
	v_cndmask_b32_e64 v11, v13, v11, s1
	s_or_b32 vcc_lo, s0, vcc_lo
	v_lshrrev_b32_e32 v13, v22, v26
	s_wait_alu 0xfffe
	v_add_co_ci_u32_e32 v17, vcc_lo, 0, v20, vcc_lo
	v_cmp_ne_u32_e32 vcc_lo, 0, v18
	s_delay_alu instid0(VALU_DEP_3) | instskip(SKIP_4) | instid1(VALU_DEP_2)
	v_lshlrev_b32_e32 v20, v22, v13
	v_and_or_b32 v22, 0x8000, v12, v11
	s_wait_alu 0xfffd
	v_cndmask_b32_e64 v18, 0, 1, vcc_lo
	v_cmp_gt_i32_e32 vcc_lo, 31, v23
	v_lshl_or_b32 v18, v18, 9, 0x7c00
	s_wait_alu 0xfffd
	v_cndmask_b32_e32 v17, 0x7c00, v17, vcc_lo
	v_cmp_ne_u32_e32 vcc_lo, v20, v26
	v_and_or_b32 v9, 0x1ff, v10, v9
	s_wait_alu 0xfffd
	v_cndmask_b32_e64 v20, 0, 1, vcc_lo
	v_cmp_eq_u32_e32 vcc_lo, 0x40f, v23
	s_delay_alu instid0(VALU_DEP_2)
	v_or_b32_e32 v12, v13, v20
	s_wait_alu 0xfffd
	v_cndmask_b32_e32 v11, v17, v18, vcc_lo
	v_mul_f16_e32 v13, v3, v2
	v_lshl_or_b32 v17, v24, 12, v7
	v_cmp_gt_i32_e32 vcc_lo, 1, v24
	v_mul_f64_e32 v[2:3], s[22:23], v[15:16]
	v_bfe_u32 v15, v10, 20, 11
	v_fma_f16 v5, v5, v21, -v13
	v_and_or_b32 v14, 0x8000, v14, v11
	s_wait_alu 0xfffd
	v_cndmask_b32_e32 v13, v17, v12, vcc_lo
	v_cmp_ne_u32_e32 vcc_lo, 0, v9
	v_lshrrev_b32_e32 v12, 8, v10
	v_cvt_f32_f16_e32 v5, v5
	s_wait_loadcnt 0x0
	v_lshrrev_b32_e32 v18, 16, v6
	v_and_b32_e32 v16, 7, v13
	s_wait_alu 0xfffd
	v_cndmask_b32_e64 v9, 0, 1, vcc_lo
	v_lshrrev_b32_e32 v13, 2, v13
	v_and_b32_e32 v20, 0xffff, v22
	v_lshrrev_b32_e32 v10, 16, v10
	v_cmp_lt_i32_e32 vcc_lo, 5, v16
	v_and_or_b32 v17, 0xffe, v12, v9
	v_cvt_f64_f32_e32 v[11:12], v5
	v_lshrrev_b32_e32 v9, 16, v4
	v_cmp_eq_u32_e64 s0, 3, v16
	v_sub_nc_u32_e32 v5, 0x3f1, v15
	v_or_b32_e32 v21, 0x1000, v17
	v_lshl_or_b32 v16, v14, 16, v20
	v_mul_f16_e32 v22, v9, v18
	s_or_b32 vcc_lo, s0, vcc_lo
	v_med3_i32 v5, v5, 0, 13
	s_wait_alu 0xfffe
	v_add_co_ci_u32_e32 v13, vcc_lo, 0, v13, vcc_lo
	v_fmac_f16_e32 v22, v4, v6
	v_cmp_ne_u32_e32 vcc_lo, 0, v7
	v_lshrrev_b32_e32 v20, v5, v21
	v_add_nc_u32_e32 v15, 0xfffffc10, v15
	v_mul_f16_e32 v4, v4, v18
	v_cvt_f32_f16_e32 v14, v22
	s_wait_alu 0xfffd
	v_cndmask_b32_e64 v7, 0, 1, vcc_lo
	v_cmp_gt_i32_e32 vcc_lo, 31, v24
	v_lshlrev_b32_e32 v5, v5, v20
	v_fma_f16 v6, v6, v9, -v4
	v_lshl_or_b32 v9, v15, 12, v17
	v_and_or_b32 v2, 0x1ff, v3, v2
	s_wait_alu 0xfffd
	v_cndmask_b32_e32 v22, 0x7c00, v13, vcc_lo
	v_cvt_f64_f32_e32 v[13:14], v14
	v_cmp_ne_u32_e32 vcc_lo, v5, v21
	v_lshl_or_b32 v23, v7, 9, 0x7c00
	v_lshrrev_b32_e32 v7, 8, v3
	v_cvt_f32_f16_e32 v6, v6
	s_wait_alu 0xfffd
	v_cndmask_b32_e64 v5, 0, 1, vcc_lo
	v_cmp_ne_u32_e32 vcc_lo, 0, v2
	s_delay_alu instid0(VALU_DEP_2)
	v_or_b32_e32 v18, v20, v5
	s_wait_alu 0xfffd
	v_cndmask_b32_e64 v2, 0, 1, vcc_lo
	v_bfe_u32 v20, v3, 20, 11
	v_cmp_gt_i32_e32 vcc_lo, 1, v15
	v_mul_f64_e32 v[4:5], s[22:23], v[11:12]
	v_lshrrev_b32_e32 v3, 16, v3
	v_and_or_b32 v2, 0xffe, v7, v2
	v_sub_nc_u32_e32 v7, 0x3f1, v20
	s_wait_alu 0xfffd
	v_cndmask_b32_e32 v11, v9, v18, vcc_lo
	v_cmp_eq_u32_e32 vcc_lo, 0x40f, v24
	v_add_nc_u32_e32 v20, 0xfffffc10, v20
	v_or_b32_e32 v12, 0x1000, v2
	v_med3_i32 v18, v7, 0, 13
	v_cvt_f64_f32_e32 v[6:7], v6
	s_wait_alu 0xfffd
	v_cndmask_b32_e32 v21, v22, v23, vcc_lo
	v_and_b32_e32 v23, 7, v11
	v_lshrrev_b32_e32 v22, 16, v8
	v_lshrrev_b32_e32 v24, v18, v12
	v_add_co_u32 v8, vcc_lo, v0, s20
	s_wait_alu 0xfffd
	v_add_co_ci_u32_e32 v9, vcc_lo, s21, v1, vcc_lo
	v_cmp_lt_i32_e32 vcc_lo, 5, v23
	v_cmp_eq_u32_e64 s0, 3, v23
	v_lshlrev_b32_e32 v18, v18, v24
	v_and_or_b32 v21, 0x8000, v22, v21
	v_lshrrev_b32_e32 v22, 2, v11
	s_delay_alu instid0(VALU_DEP_4) | instskip(NEXT) | instid1(VALU_DEP_3)
	s_or_b32 vcc_lo, s0, vcc_lo
	v_cmp_ne_u32_e64 s1, v18, v12
	v_mul_f64_e32 v[11:12], s[22:23], v[13:14]
	s_wait_alu 0xfffe
	v_add_co_ci_u32_e32 v13, vcc_lo, 0, v22, vcc_lo
	v_cmp_ne_u32_e32 vcc_lo, 0, v17
	s_wait_alu 0xf1ff
	v_cndmask_b32_e64 v18, 0, 1, s1
	s_wait_alu 0xfffd
	v_cndmask_b32_e64 v14, 0, 1, vcc_lo
	v_cmp_gt_i32_e32 vcc_lo, 31, v15
	s_delay_alu instid0(VALU_DEP_3)
	v_or_b32_e32 v17, v24, v18
	v_lshl_or_b32 v18, v20, 12, v2
	v_and_or_b32 v4, 0x1ff, v5, v4
	v_lshl_or_b32 v14, v14, 9, 0x7c00
	s_wait_alu 0xfffd
	v_cndmask_b32_e32 v13, 0x7c00, v13, vcc_lo
	v_cmp_gt_i32_e32 vcc_lo, 1, v20
	s_wait_alu 0xfffd
	v_cndmask_b32_e32 v17, v18, v17, vcc_lo
	v_cmp_eq_u32_e32 vcc_lo, 0x40f, v15
	v_lshrrev_b32_e32 v15, 8, v5
	v_mul_f64_e32 v[6:7], s[22:23], v[6:7]
	v_bfe_u32 v18, v5, 20, 11
	v_lshrrev_b32_e32 v5, 16, v5
	s_wait_alu 0xfffd
	v_cndmask_b32_e32 v13, v13, v14, vcc_lo
	v_cmp_ne_u32_e32 vcc_lo, 0, v4
	v_and_b32_e32 v14, 7, v17
	s_delay_alu instid0(VALU_DEP_3)
	v_and_or_b32 v10, 0x8000, v10, v13
	v_and_b32_e32 v13, 0xffff, v21
	s_wait_alu 0xfffd
	v_cndmask_b32_e64 v4, 0, 1, vcc_lo
	v_cmp_lt_i32_e32 vcc_lo, 5, v14
	v_cmp_eq_u32_e64 s0, 3, v14
	v_lshl_or_b32 v10, v10, 16, v13
	v_lshrrev_b32_e32 v13, 2, v17
	v_and_or_b32 v4, 0xffe, v15, v4
	v_sub_nc_u32_e32 v15, 0x3f1, v18
	s_or_b32 vcc_lo, s0, vcc_lo
	v_and_or_b32 v11, 0x1ff, v12, v11
	s_wait_alu 0xfffe
	v_add_co_ci_u32_e32 v13, vcc_lo, 0, v13, vcc_lo
	v_or_b32_e32 v14, 0x1000, v4
	v_med3_i32 v15, v15, 0, 13
	v_cmp_ne_u32_e32 vcc_lo, 0, v2
	v_lshrrev_b32_e32 v21, 8, v12
	v_bfe_u32 v22, v12, 20, 11
	v_lshrrev_b32_e32 v12, 16, v12
	v_lshrrev_b32_e32 v17, v15, v14
	s_wait_alu 0xfffd
	v_cndmask_b32_e64 v2, 0, 1, vcc_lo
	v_cmp_gt_i32_e32 vcc_lo, 31, v20
	s_delay_alu instid0(VALU_DEP_3) | instskip(NEXT) | instid1(VALU_DEP_3)
	v_lshlrev_b32_e32 v15, v15, v17
	v_lshl_or_b32 v2, v2, 9, 0x7c00
	s_wait_alu 0xfffd
	v_cndmask_b32_e32 v13, 0x7c00, v13, vcc_lo
	v_cmp_ne_u32_e32 vcc_lo, 0, v11
	v_and_or_b32 v6, 0x1ff, v7, v6
	s_wait_alu 0xfffd
	v_cndmask_b32_e64 v11, 0, 1, vcc_lo
	v_cmp_ne_u32_e32 vcc_lo, v15, v14
	v_add_nc_u32_e32 v15, 0xfffffc10, v18
	v_sub_nc_u32_e32 v18, 0x3f1, v22
	s_delay_alu instid0(VALU_DEP_4)
	v_and_or_b32 v11, 0xffe, v21, v11
	s_wait_alu 0xfffd
	v_cndmask_b32_e64 v14, 0, 1, vcc_lo
	v_cmp_eq_u32_e32 vcc_lo, 0x40f, v20
	v_med3_i32 v18, v18, 0, 13
	v_lshrrev_b32_e32 v20, 8, v7
	v_bfe_u32 v21, v7, 20, 11
	v_lshrrev_b32_e32 v7, 16, v7
	s_wait_alu 0xfffd
	v_cndmask_b32_e32 v2, v13, v2, vcc_lo
	v_or_b32_e32 v13, v17, v14
	v_lshl_or_b32 v14, v15, 12, v4
	v_or_b32_e32 v17, 0x1000, v11
	v_cmp_gt_i32_e32 vcc_lo, 1, v15
	v_and_or_b32 v2, 0x8000, v3, v2
	s_wait_alu 0xfffd
	v_cndmask_b32_e32 v13, v14, v13, vcc_lo
	v_lshrrev_b32_e32 v14, v18, v17
	v_cmp_ne_u32_e32 vcc_lo, 0, v6
	s_delay_alu instid0(VALU_DEP_3) | instskip(NEXT) | instid1(VALU_DEP_3)
	v_and_b32_e32 v23, 7, v13
	v_lshlrev_b32_e32 v18, v18, v14
	s_wait_alu 0xfffd
	v_cndmask_b32_e64 v6, 0, 1, vcc_lo
	v_lshrrev_b32_e32 v13, 2, v13
	v_cmp_lt_i32_e32 vcc_lo, 5, v23
	v_cmp_ne_u32_e64 s0, v18, v17
	s_delay_alu instid0(VALU_DEP_4)
	v_and_or_b32 v3, 0xffe, v20, v6
	v_sub_nc_u32_e32 v6, 0x3f1, v21
	v_add_nc_u32_e32 v20, 0xfffffc10, v22
	s_wait_alu 0xf1ff
	v_cndmask_b32_e64 v17, 0, 1, s0
	v_cmp_eq_u32_e64 s0, 3, v23
	v_or_b32_e32 v18, 0x1000, v3
	v_med3_i32 v6, v6, 0, 13
	v_lshl_or_b32 v22, v20, 12, v11
	v_or_b32_e32 v14, v14, v17
	s_or_b32 vcc_lo, s0, vcc_lo
	s_wait_alu 0xfffe
	v_add_co_ci_u32_e32 v13, vcc_lo, 0, v13, vcc_lo
	v_lshrrev_b32_e32 v17, v6, v18
	v_cmp_gt_i32_e32 vcc_lo, 1, v20
	s_delay_alu instid0(VALU_DEP_2)
	v_lshlrev_b32_e32 v6, v6, v17
	s_wait_alu 0xfffd
	v_cndmask_b32_e32 v14, v22, v14, vcc_lo
	v_cmp_ne_u32_e32 vcc_lo, 0, v4
	s_wait_alu 0xfffd
	v_cndmask_b32_e64 v4, 0, 1, vcc_lo
	v_cmp_ne_u32_e32 vcc_lo, v6, v18
	v_add_nc_u32_e32 v18, 0xfffffc10, v21
	v_and_b32_e32 v21, 7, v14
	s_delay_alu instid0(VALU_DEP_4)
	v_lshl_or_b32 v4, v4, 9, 0x7c00
	s_wait_alu 0xfffd
	v_cndmask_b32_e64 v6, 0, 1, vcc_lo
	v_cmp_gt_i32_e32 vcc_lo, 31, v15
	v_cmp_gt_i32_e64 s1, 1, v18
	v_cmp_eq_u32_e64 s0, 3, v21
	s_delay_alu instid0(VALU_DEP_4)
	v_or_b32_e32 v6, v17, v6
	v_lshl_or_b32 v17, v18, 12, v3
	s_wait_alu 0xfffd
	v_cndmask_b32_e32 v13, 0x7c00, v13, vcc_lo
	v_cmp_lt_i32_e32 vcc_lo, 5, v21
	s_wait_alu 0xf1ff
	v_cndmask_b32_e64 v6, v17, v6, s1
	v_cmp_eq_u32_e64 s1, 0x40f, v15
	s_or_b32 vcc_lo, s0, vcc_lo
	s_delay_alu instid0(VALU_DEP_1)
	v_cndmask_b32_e64 v4, v13, v4, s1
	v_lshrrev_b32_e32 v13, 2, v14
	v_and_b32_e32 v14, 7, v6
	v_lshrrev_b32_e32 v6, 2, v6
	v_cmp_gt_i32_e64 s1, 31, v20
	v_and_or_b32 v4, 0x8000, v5, v4
	s_wait_alu 0xfffe
	v_add_co_ci_u32_e32 v13, vcc_lo, 0, v13, vcc_lo
	v_cmp_ne_u32_e32 vcc_lo, 0, v11
	v_cmp_eq_u32_e64 s0, 3, v14
	v_and_b32_e32 v5, 0xffff, v2
	s_wait_alu 0xf1ff
	v_cndmask_b32_e64 v13, 0x7c00, v13, s1
	s_wait_alu 0xfffd
	v_cndmask_b32_e64 v11, 0, 1, vcc_lo
	v_cmp_lt_i32_e32 vcc_lo, 5, v14
	s_delay_alu instid0(VALU_DEP_2)
	v_lshl_or_b32 v11, v11, 9, 0x7c00
	s_or_b32 vcc_lo, s0, vcc_lo
	s_wait_alu 0xfffe
	v_add_co_ci_u32_e32 v6, vcc_lo, 0, v6, vcc_lo
	v_cmp_ne_u32_e32 vcc_lo, 0, v3
	s_wait_alu 0xfffd
	v_cndmask_b32_e64 v3, 0, 1, vcc_lo
	v_cmp_eq_u32_e32 vcc_lo, 0x40f, v20
	s_delay_alu instid0(VALU_DEP_2) | instskip(SKIP_3) | instid1(VALU_DEP_2)
	v_lshl_or_b32 v3, v3, 9, 0x7c00
	s_wait_alu 0xfffd
	v_cndmask_b32_e32 v11, v13, v11, vcc_lo
	v_cmp_gt_i32_e32 vcc_lo, 31, v18
	v_and_or_b32 v11, 0x8000, v12, v11
	s_wait_alu 0xfffd
	v_cndmask_b32_e32 v6, 0x7c00, v6, vcc_lo
	v_cmp_eq_u32_e32 vcc_lo, 0x40f, v18
	v_lshl_or_b32 v12, v4, 16, v5
	s_wait_alu 0xfffd
	s_delay_alu instid0(VALU_DEP_3) | instskip(SKIP_3) | instid1(VALU_DEP_3)
	v_cndmask_b32_e32 v6, v6, v3, vcc_lo
	v_add_co_u32 v2, vcc_lo, v8, s20
	s_wait_alu 0xfffd
	v_add_co_ci_u32_e32 v3, vcc_lo, s21, v9, vcc_lo
	v_and_or_b32 v6, 0x8000, v7, v6
	v_and_b32_e32 v7, 0xffff, v11
	v_add_co_u32 v4, vcc_lo, v2, s20
	s_wait_alu 0xfffd
	v_add_co_ci_u32_e32 v5, vcc_lo, s21, v3, vcc_lo
	s_delay_alu instid0(VALU_DEP_3) | instskip(NEXT) | instid1(VALU_DEP_3)
	v_lshl_or_b32 v11, v6, 16, v7
	v_add_co_u32 v6, vcc_lo, v4, s20
	s_wait_alu 0xfffd
	s_delay_alu instid0(VALU_DEP_3)
	v_add_co_ci_u32_e32 v7, vcc_lo, s21, v5, vcc_lo
	global_store_b32 v[0:1], v19, off
	global_store_b32 v[8:9], v16, off
	;; [unrolled: 1-line block ×5, first 2 shown]
.LBB0_23:
	s_nop 0
	s_sendmsg sendmsg(MSG_DEALLOC_VGPRS)
	s_endpgm
	.section	.rodata,"a",@progbits
	.p2align	6, 0x0
	.amdhsa_kernel bluestein_single_back_len330_dim1_half_op_CI_CI
		.amdhsa_group_segment_fixed_size 3960
		.amdhsa_private_segment_fixed_size 0
		.amdhsa_kernarg_size 104
		.amdhsa_user_sgpr_count 2
		.amdhsa_user_sgpr_dispatch_ptr 0
		.amdhsa_user_sgpr_queue_ptr 0
		.amdhsa_user_sgpr_kernarg_segment_ptr 1
		.amdhsa_user_sgpr_dispatch_id 0
		.amdhsa_user_sgpr_private_segment_size 0
		.amdhsa_wavefront_size32 1
		.amdhsa_uses_dynamic_stack 0
		.amdhsa_enable_private_segment 0
		.amdhsa_system_sgpr_workgroup_id_x 1
		.amdhsa_system_sgpr_workgroup_id_y 0
		.amdhsa_system_sgpr_workgroup_id_z 0
		.amdhsa_system_sgpr_workgroup_info 0
		.amdhsa_system_vgpr_workitem_id 0
		.amdhsa_next_free_vgpr 150
		.amdhsa_next_free_sgpr 24
		.amdhsa_reserve_vcc 1
		.amdhsa_float_round_mode_32 0
		.amdhsa_float_round_mode_16_64 0
		.amdhsa_float_denorm_mode_32 3
		.amdhsa_float_denorm_mode_16_64 3
		.amdhsa_fp16_overflow 0
		.amdhsa_workgroup_processor_mode 1
		.amdhsa_memory_ordered 1
		.amdhsa_forward_progress 0
		.amdhsa_round_robin_scheduling 0
		.amdhsa_exception_fp_ieee_invalid_op 0
		.amdhsa_exception_fp_denorm_src 0
		.amdhsa_exception_fp_ieee_div_zero 0
		.amdhsa_exception_fp_ieee_overflow 0
		.amdhsa_exception_fp_ieee_underflow 0
		.amdhsa_exception_fp_ieee_inexact 0
		.amdhsa_exception_int_div_zero 0
	.end_amdhsa_kernel
	.text
.Lfunc_end0:
	.size	bluestein_single_back_len330_dim1_half_op_CI_CI, .Lfunc_end0-bluestein_single_back_len330_dim1_half_op_CI_CI
                                        ; -- End function
	.section	.AMDGPU.csdata,"",@progbits
; Kernel info:
; codeLenInByte = 19052
; NumSgprs: 26
; NumVgprs: 150
; ScratchSize: 0
; MemoryBound: 0
; FloatMode: 240
; IeeeMode: 1
; LDSByteSize: 3960 bytes/workgroup (compile time only)
; SGPRBlocks: 3
; VGPRBlocks: 18
; NumSGPRsForWavesPerEU: 26
; NumVGPRsForWavesPerEU: 150
; Occupancy: 9
; WaveLimiterHint : 1
; COMPUTE_PGM_RSRC2:SCRATCH_EN: 0
; COMPUTE_PGM_RSRC2:USER_SGPR: 2
; COMPUTE_PGM_RSRC2:TRAP_HANDLER: 0
; COMPUTE_PGM_RSRC2:TGID_X_EN: 1
; COMPUTE_PGM_RSRC2:TGID_Y_EN: 0
; COMPUTE_PGM_RSRC2:TGID_Z_EN: 0
; COMPUTE_PGM_RSRC2:TIDIG_COMP_CNT: 0
	.text
	.p2alignl 7, 3214868480
	.fill 96, 4, 3214868480
	.type	__hip_cuid_e34ea30b02c7c64,@object ; @__hip_cuid_e34ea30b02c7c64
	.section	.bss,"aw",@nobits
	.globl	__hip_cuid_e34ea30b02c7c64
__hip_cuid_e34ea30b02c7c64:
	.byte	0                               ; 0x0
	.size	__hip_cuid_e34ea30b02c7c64, 1

	.ident	"AMD clang version 19.0.0git (https://github.com/RadeonOpenCompute/llvm-project roc-6.4.0 25133 c7fe45cf4b819c5991fe208aaa96edf142730f1d)"
	.section	".note.GNU-stack","",@progbits
	.addrsig
	.addrsig_sym __hip_cuid_e34ea30b02c7c64
	.amdgpu_metadata
---
amdhsa.kernels:
  - .args:
      - .actual_access:  read_only
        .address_space:  global
        .offset:         0
        .size:           8
        .value_kind:     global_buffer
      - .actual_access:  read_only
        .address_space:  global
        .offset:         8
        .size:           8
        .value_kind:     global_buffer
      - .actual_access:  read_only
        .address_space:  global
        .offset:         16
        .size:           8
        .value_kind:     global_buffer
      - .actual_access:  read_only
        .address_space:  global
        .offset:         24
        .size:           8
        .value_kind:     global_buffer
      - .actual_access:  read_only
        .address_space:  global
        .offset:         32
        .size:           8
        .value_kind:     global_buffer
      - .offset:         40
        .size:           8
        .value_kind:     by_value
      - .address_space:  global
        .offset:         48
        .size:           8
        .value_kind:     global_buffer
      - .address_space:  global
        .offset:         56
        .size:           8
        .value_kind:     global_buffer
      - .address_space:  global
        .offset:         64
        .size:           8
        .value_kind:     global_buffer
      - .address_space:  global
        .offset:         72
        .size:           8
        .value_kind:     global_buffer
      - .offset:         80
        .size:           4
        .value_kind:     by_value
      - .address_space:  global
        .offset:         88
        .size:           8
        .value_kind:     global_buffer
      - .address_space:  global
        .offset:         96
        .size:           8
        .value_kind:     global_buffer
    .group_segment_fixed_size: 3960
    .kernarg_segment_align: 8
    .kernarg_segment_size: 104
    .language:       OpenCL C
    .language_version:
      - 2
      - 0
    .max_flat_workgroup_size: 99
    .name:           bluestein_single_back_len330_dim1_half_op_CI_CI
    .private_segment_fixed_size: 0
    .sgpr_count:     26
    .sgpr_spill_count: 0
    .symbol:         bluestein_single_back_len330_dim1_half_op_CI_CI.kd
    .uniform_work_group_size: 1
    .uses_dynamic_stack: false
    .vgpr_count:     150
    .vgpr_spill_count: 0
    .wavefront_size: 32
    .workgroup_processor_mode: 1
amdhsa.target:   amdgcn-amd-amdhsa--gfx1201
amdhsa.version:
  - 1
  - 2
...

	.end_amdgpu_metadata
